;; amdgpu-corpus repo=ROCm/aiter kind=harvested arch=n/a opt=n/a

/root/src/amdgpu-assembly/repos/ROCm__aiter/hsa/gfx942/fmoe/gelu/fmoe_fp16_pertokenFp8_g1u1_vs_smf_gelu_1tg_32x512.co:	file format elf64-amdgpu

Disassembly of section .text:

0000000000002e00 <_ZN5aiter49fmoe_fp16_pertokenFp8_g1u1_vs_smf_gelu_1tg_32x512E>:
	s_and_b32 s1, s1, 0xffff                                   // 000000002E00: 8601FF01 0000FFFF
	s_load_dwordx2 s[8:9], s[0:1], 0x0                         // 000000002E08: C0060200 00000000
	s_load_dwordx2 s[20:21], s[0:1], 0x10                      // 000000002E10: C0060500 00000010
	s_load_dwordx2 s[24:25], s[0:1], 0x20                      // 000000002E18: C0060600 00000020
	s_load_dwordx2 s[50:51], s[0:1], 0x30                      // 000000002E20: C0060C80 00000030
	s_load_dwordx2 s[12:13], s[0:1], 0x40                      // 000000002E28: C0060300 00000040
	s_load_dwordx2 s[28:29], s[0:1], 0x50                      // 000000002E30: C0060700 00000050
	s_load_dwordx2 s[32:33], s[0:1], 0x60                      // 000000002E38: C0060800 00000060
	s_load_dwordx2 s[16:17], s[0:1], 0x70                      // 000000002E40: C0060400 00000070
	s_load_dwordx2 s[36:37], s[0:1], 0x80                      // 000000002E48: C0060900 00000080
	s_load_dwordx2 s[44:45], s[0:1], 0x90                      // 000000002E50: C0060B00 00000090
	s_load_dwordx2 s[40:41], s[0:1], 0xa0                      // 000000002E58: C0060A00 000000A0
	s_load_dwordx2 s[46:47], s[0:1], 0xb0                      // 000000002E60: C0060B80 000000B0
	s_load_dword s64, s[0:1], 0xc0                             // 000000002E68: C0021000 000000C0
	s_load_dword s65, s[0:1], 0xd0                             // 000000002E70: C0021040 000000D0
	s_load_dword s66, s[0:1], 0xe0                             // 000000002E78: C0021080 000000E0
	s_load_dword s67, s[0:1], 0xf0                             // 000000002E80: C00210C0 000000F0
	s_load_dword s68, s[0:1], 0x100                            // 000000002E88: C0021100 00000100
	s_load_dword s69, s[0:1], 0x110                            // 000000002E90: C0021140 00000110
	s_load_dword s70, s[0:1], 0x120                            // 000000002E98: C0021180 00000120
	s_load_dword s71, s[0:1], 0x130                            // 000000002EA0: C00211C0 00000130
	s_load_dword s72, s[0:1], 0x140                            // 000000002EA8: C0021200 00000140
	s_load_dword s73, s[0:1], 0x150                            // 000000002EB0: C0021240 00000150
	s_load_dword s74, s[0:1], 0x160                            // 000000002EB8: C0021280 00000160
	s_load_dword s75, s[0:1], 0x170                            // 000000002EC0: C00212C0 00000170
	s_load_dword s76, s[0:1], 0x180                            // 000000002EC8: C0021300 00000180
	s_load_dword s63, s[0:1], 0x190                            // 000000002ED0: C0020FC0 00000190
	v_lshrrev_b32_e32 v1, 10, v0                               // 000000002ED8: 2002008A
	v_lshrrev_b32_e32 v2, 10, v1                               // 000000002EDC: 2004028A
	v_and_b32_e32 v2, 0x3ff, v2                                // 000000002EE0: 260404FF 000003FF
	v_and_b32_e32 v1, 0x3ff, v1                                // 000000002EE8: 260202FF 000003FF
	v_and_b32_e32 v0, 0x3ff, v0                                // 000000002EF0: 260000FF 000003FF
	v_lshrrev_b32_e32 v3, 6, v0                                // 000000002EF8: 20060086
	v_and_b32_e32 v0, 63, v0                                   // 000000002EFC: 260000BF
	s_mov_b32 s60, s2                                          // 000000002F00: BEBC0002
	s_mov_b32 s2, s3                                           // 000000002F04: BE820003
	s_mov_b32 s3, s60                                          // 000000002F08: BE83003C
	v_readfirstlane_b32 s5, v3                                 // 000000002F0C: 7E0A0503
	s_waitcnt lgkmcnt(0)                                       // 000000002F10: BF8CC07F
	s_and_b32 s51, s51, 0xffff                                 // 000000002F14: 8633FF33 0000FFFF
	s_load_dword s50, s[50:51], 0x0                            // 000000002F1C: C0020C99 00000000
	s_and_b32 s45, s45, 0xffff                                 // 000000002F24: 862DFF2D 0000FFFF
	s_and_b32 s47, s47, 0xffff                                 // 000000002F2C: 862FFF2F 0000FFFF
	s_and_b32 s9, s9, 0xffff                                   // 000000002F34: 8609FF09 0000FFFF
	s_mul_i32 s60, s66, s68                                    // 000000002F3C: 923C4442
	s_mov_b32 s22, s60                                         // 000000002F40: BE96003C
	s_mov_b32 s26, -16                                         // 000000002F44: BE9A00D0
	s_mov_b32 s14, -16                                         // 000000002F48: BE8E00D0
	s_mov_b32 s42, -16                                         // 000000002F4C: BEAA00D0
	s_mov_b32 s30, -16                                         // 000000002F50: BE9E00D0
	s_mov_b32 s34, 0x800                                       // 000000002F54: BEA200FF 00000800
	s_mov_b32 s38, 0x800                                       // 000000002F5C: BEA600FF 00000800
	s_mov_b32 s18, -16                                         // 000000002F64: BE9200D0
	s_mov_b32 s23, 0x20000                                     // 000000002F68: BE9700FF 00020000
	s_mov_b32 s27, 0x20000                                     // 000000002F70: BE9B00FF 00020000
	s_mov_b32 s15, 0x20000                                     // 000000002F78: BE8F00FF 00020000
	s_mov_b32 s43, 0x20000                                     // 000000002F80: BEAB00FF 00020000
	s_mov_b32 s31, 0x20000                                     // 000000002F88: BE9F00FF 00020000
	s_mov_b32 s35, 0x20000                                     // 000000002F90: BEA300FF 00020000
	s_mov_b32 s39, 0x20000                                     // 000000002F98: BEA700FF 00020000
	s_mov_b32 s19, 0x20000                                     // 000000002FA0: BE9300FF 00020000
	s_and_b32 s21, s21, 0xffff                                 // 000000002FA8: 8615FF15 0000FFFF
	s_and_b32 s25, s25, 0xffff                                 // 000000002FB0: 8619FF19 0000FFFF
	s_and_b32 s13, s13, 0xffff                                 // 000000002FB8: 860DFF0D 0000FFFF
	s_and_b32 s41, s41, 0xffff                                 // 000000002FC0: 8629FF29 0000FFFF
	s_and_b32 s29, s29, 0xffff                                 // 000000002FC8: 861DFF1D 0000FFFF
	s_and_b32 s33, s33, 0xffff                                 // 000000002FD0: 8621FF21 0000FFFF
	s_and_b32 s37, s37, 0xffff                                 // 000000002FD8: 8625FF25 0000FFFF
	s_and_b32 s17, s17, 0xffff                                 // 000000002FE0: 8611FF11 0000FFFF
	s_or_b32 s21, s21, 0x40000                                 // 000000002FE8: 8715FF15 00040000
	s_or_b32 s25, s25, 0x40000                                 // 000000002FF0: 8719FF19 00040000
	s_or_b32 s13, s13, 0x40000                                 // 000000002FF8: 870DFF0D 00040000
	s_or_b32 s41, s41, 0x40000                                 // 000000003000: 8729FF29 00040000
	s_or_b32 s29, s29, 0x40000                                 // 000000003008: 871DFF1D 00040000
	s_or_b32 s33, s33, 0x40000                                 // 000000003010: 8721FF21 00040000
	s_or_b32 s37, s37, 0x40000                                 // 000000003018: 8725FF25 00040000
	s_or_b32 s17, s17, 0x40000                                 // 000000003020: 8711FF11 00040000
	v_accvgpr_write_b32 a255, 0                                // 000000003028: D3D940FF 18000080
	v_mov_b32_e32 v255, 0                                      // 000000003030: 7FFE0280
	s_waitcnt lgkmcnt(0)                                       // 000000003034: BF8CC07F
	s_mul_i32 s60, s3, 32                                      // 000000003038: 923CA003
	s_cmp_lt_i32 s60, s50                                      // 00000000303C: BF04323C
	s_cbranch_scc0 label_30F3                                  // 000000003040: BF843062
	s_mov_b32 s80, 0                                           // 000000003044: BED00080
	s_mov_b32 s81, s64                                         // 000000003048: BED10040
	s_mul_i32 s60, s3, 4                                       // 00000000304C: 923C8403
	s_add_u32 s46, s60, s46                                    // 000000003050: 802E2E3C
	s_addc_u32 s47, 0, s47                                     // 000000003054: 822F2F80
	s_load_dword s77, s[46:47], 0x0                            // 000000003058: C0021357 00000000
	s_mul_i32 s60, s3, 32                                      // 000000003060: 923CA003
	s_add_u32 s60, s5, s60                                     // 000000003064: 803C3C05
	s_mul_i32 s60, 4, s60                                      // 000000003068: 923C3C84
	s_add_u32 s44, s60, s44                                    // 00000000306C: 802C2C3C
	s_addc_u32 s45, 0, s45                                     // 000000003070: 822D2D80
	s_load_dword s82, s[44:45], 0x0                            // 000000003074: C0021496 00000000
	s_load_dword s83, s[44:45], 0x10                           // 00000000307C: C00214D6 00000010
	s_load_dword s84, s[44:45], 0x20                           // 000000003084: C0021516 00000020
	s_load_dword s85, s[44:45], 0x30                           // 00000000308C: C0021556 00000030
	s_load_dword s86, s[44:45], 0x40                           // 000000003094: C0021596 00000040
	s_load_dword s87, s[44:45], 0x50                           // 00000000309C: C00215D6 00000050
	s_load_dword s88, s[44:45], 0x60                           // 0000000030A4: C0021616 00000060
	s_load_dword s89, s[44:45], 0x70                           // 0000000030AC: C0021656 00000070
	s_waitcnt lgkmcnt(0)                                       // 0000000030B4: BF8CC07F
	v_lshlrev_b32_e32 v44, 2, v0                               // 0000000030B8: 24580082
	s_and_b32 s82, s82, 0xffffff                               // 0000000030BC: 8652FF52 00FFFFFF
	s_mul_i32 s60, s82, s68                                    // 0000000030C4: 923C4452
	v_add_u32_e64 v28, v44, s60                                // 0000000030C8: D134001C 0000792C
	s_and_b32 s83, s83, 0xffffff                               // 0000000030D0: 8653FF53 00FFFFFF
	s_mul_i32 s60, s83, s68                                    // 0000000030D8: 923C4453
	v_add_u32_e64 v29, v44, s60                                // 0000000030DC: D134001D 0000792C
	s_and_b32 s84, s84, 0xffffff                               // 0000000030E4: 8654FF54 00FFFFFF
	s_mul_i32 s60, s84, s68                                    // 0000000030EC: 923C4454
	v_add_u32_e64 v30, v44, s60                                // 0000000030F0: D134001E 0000792C
	s_and_b32 s85, s85, 0xffffff                               // 0000000030F8: 8655FF55 00FFFFFF
	s_mul_i32 s60, s85, s68                                    // 000000003100: 923C4455
	v_add_u32_e64 v31, v44, s60                                // 000000003104: D134001F 0000792C
	s_and_b32 s86, s86, 0xffffff                               // 00000000310C: 8656FF56 00FFFFFF
	s_mul_i32 s60, s86, s68                                    // 000000003114: 923C4456
	v_add_u32_e64 v32, v44, s60                                // 000000003118: D1340020 0000792C
	s_and_b32 s87, s87, 0xffffff                               // 000000003120: 8657FF57 00FFFFFF
	s_mul_i32 s60, s87, s68                                    // 000000003128: 923C4457
	v_add_u32_e64 v33, v44, s60                                // 00000000312C: D1340021 0000792C
	s_and_b32 s88, s88, 0xffffff                               // 000000003134: 8658FF58 00FFFFFF
	s_mul_i32 s60, s88, s68                                    // 00000000313C: 923C4458
	v_add_u32_e64 v34, v44, s60                                // 000000003140: D1340022 0000792C
	s_and_b32 s89, s89, 0xffffff                               // 000000003148: 8659FF59 00FFFFFF
	s_mul_i32 s60, s89, s68                                    // 000000003150: 923C4459
	v_add_u32_e64 v35, v44, s60                                // 000000003154: D1340023 0000792C
	v_lshlrev_b32_e32 v44, 2, v0                               // 00000000315C: 24580082
	s_mul_i32 s60, s82, s71                                    // 000000003160: 923C4752
	v_add_u32_e64 v80, v44, s60                                // 000000003164: D1340050 0000792C
	v_mov_b32_e32 v81, 0                                       // 00000000316C: 7EA20280
	s_mul_i32 s60, s83, s71                                    // 000000003170: 923C4753
	v_add_u32_e64 v82, v44, s60                                // 000000003174: D1340052 0000792C
	v_mov_b32_e32 v83, 0                                       // 00000000317C: 7EA60280
	s_mul_i32 s60, s84, s71                                    // 000000003180: 923C4754
	v_add_u32_e64 v84, v44, s60                                // 000000003184: D1340054 0000792C
	v_mov_b32_e32 v85, 0                                       // 00000000318C: 7EAA0280
	s_mul_i32 s60, s85, s71                                    // 000000003190: 923C4755
	v_add_u32_e64 v86, v44, s60                                // 000000003194: D1340056 0000792C
	v_mov_b32_e32 v87, 0                                       // 00000000319C: 7EAE0280
	s_mul_i32 s60, s86, s71                                    // 0000000031A0: 923C4756
	v_add_u32_e64 v88, v44, s60                                // 0000000031A4: D1340058 0000792C
	v_mov_b32_e32 v89, 0                                       // 0000000031AC: 7EB20280
	s_mul_i32 s60, s87, s71                                    // 0000000031B0: 923C4757
	v_add_u32_e64 v90, v44, s60                                // 0000000031B4: D134005A 0000792C
	v_mov_b32_e32 v91, 0                                       // 0000000031BC: 7EB60280
	s_mul_i32 s60, s88, s71                                    // 0000000031C0: 923C4758
	v_add_u32_e64 v92, v44, s60                                // 0000000031C4: D134005C 0000792C
	v_mov_b32_e32 v93, 0                                       // 0000000031CC: 7EBA0280
	s_mul_i32 s60, s89, s71                                    // 0000000031D0: 923C4759
	v_add_u32_e64 v94, v44, s60                                // 0000000031D4: D134005E 0000792C
	v_mov_b32_e32 v95, 0                                       // 0000000031DC: 7EBE0280
	s_mul_i32 s60, s5, 0x208                                   // 0000000031E0: 923CFF05 00000208
	s_add_u32 s50, 0x800, s60                                  // 0000000031E8: 80323CFF 00000800
	s_add_u32 s51, 0x4100, s50                                 // 0000000031F0: 803332FF 00004100
	v_lshrrev_b32_e32 v44, 4, v0                               // 0000000031F8: 20580084
	v_lshlrev_b32_e32 v45, 1, v44                              // 0000000031FC: 245A5881
	v_and_b32_e32 v44, 15, v0                                  // 000000003200: 2658008F
	v_mul_i32_i24_e32 v44, 0x82, v44                           // 000000003204: 0C5858FF 00000082
	v_add_u32_e32 v45, v44, v45                                // 00000000320C: 685A5B2C
	v_lshlrev_b32_e32 v2, 2, v45                               // 000000003210: 24045A82
	s_mul_i32 s60, s5, 32                                      // 000000003214: 923CA005
	v_add_u32_e32 v2, s60, v2                                  // 000000003218: 6804043C
	v_lshlrev_b32_e32 v44, 3, v0                               // 00000000321C: 24580083
	s_mul_i32 s60, 0x200, s5                                   // 000000003220: 923C05FF 00000200
	v_add_u32_e32 v3, s60, v44                                 // 000000003228: 6806583C
	v_and_b32_e32 v44, 15, v0                                  // 00000000322C: 2658008F
	v_lshlrev_b32_e32 v4, 3, v44                               // 000000003230: 24085883
	v_lshrrev_b32_e32 v44, 5, v0                               // 000000003234: 20580085
	v_lshlrev_b32_e32 v45, 5, v44                              // 000000003238: 245A5885
	v_and_b32_e32 v44, 31, v0                                  // 00000000323C: 2658009F
	v_lshrrev_b32_e32 v46, 4, v44                              // 000000003240: 205C5884
	v_add_u32_e32 v45, v46, v45                                // 000000003244: 685A5B2E
	v_and_b32_e32 v44, 15, v0                                  // 000000003248: 2658008F
	v_lshlrev_b32_e32 v44, 1, v44                              // 00000000324C: 24585881
	v_add_u32_e32 v45, v44, v45                                // 000000003250: 685A5B2C
	v_lshlrev_b32_e32 v44, 2, v45                              // 000000003254: 24585A82
	s_mul_i32 s60, 0x100, s5                                   // 000000003258: 923C05FF 00000100
	v_add_u32_e64 v12, v44, s60                                // 000000003260: D134000C 0000792C
	v_lshrrev_b32_e32 v44, 4, v0                               // 000000003268: 20580084
	v_lshlrev_b32_e32 v45, 6, v44                              // 00000000326C: 245A5886
	v_and_b32_e32 v44, 15, v0                                  // 000000003270: 2658008F
	v_lshlrev_b32_e32 v44, 1, v44                              // 000000003274: 24585881
	v_add_u32_e32 v45, v44, v45                                // 000000003278: 685A5B2C
	v_lshlrev_b32_e32 v13, 2, v45                              // 00000000327C: 241A5A82
	s_mul_i32 s60, s2, 0x200                                   // 000000003280: 923CFF02 00000200
	s_mul_i32 s60, s60, s69                                    // 000000003288: 923C453C
	s_mul_i32 s61, s77, s72                                    // 00000000328C: 923D484D
	s_add_u32 s60, s61, s60                                    // 000000003290: 803C3C3D
	s_add_u32 s24, s60, s24                                    // 000000003294: 8018183C
	s_addc_u32 s25, 0, s25                                     // 000000003298: 82191980
	s_mul_i32 s60, s5, 16                                      // 00000000329C: 923C9005
	s_mul_i32 s60, s60, s69                                    // 0000000032A0: 923C453C
	v_lshlrev_b32_e32 v36, 4, v0                               // 0000000032A4: 24480084
	v_add_u32_e32 v36, s60, v36                                // 0000000032A8: 6848483C
	s_mul_i32 s60, 64, s69                                     // 0000000032AC: 923C45C0
	v_add_u32_e32 v37, s60, v36                                // 0000000032B0: 684A483C
	v_add_u32_e32 v38, s60, v37                                // 0000000032B4: 684C4A3C
	v_add_u32_e32 v39, s60, v38                                // 0000000032B8: 684E4C3C
	v_add_u32_e32 v40, s60, v39                                // 0000000032BC: 68504E3C
	v_add_u32_e32 v41, s60, v40                                // 0000000032C0: 6852503C
	v_add_u32_e32 v42, s60, v41                                // 0000000032C4: 6854523C
	v_add_u32_e32 v43, s60, v42                                // 0000000032C8: 6856543C
	s_mov_b32 s92, s24                                         // 0000000032CC: BEDC0018
	s_mov_b32 s93, s25                                         // 0000000032D0: BEDD0019
	s_mov_b32 s94, s26                                         // 0000000032D4: BEDE001A
	s_mov_b32 s95, s27                                         // 0000000032D8: BEDF001B
	s_mul_i32 s60, s69, s65                                    // 0000000032DC: 923C4145
	s_add_u32 s92, s60, s92                                    // 0000000032E0: 805C5C3C
	s_addc_u32 s93, 0, s93                                     // 0000000032E4: 825D5D80
	s_mul_i32 s60, s2, 0x2000                                  // 0000000032E8: 923CFF02 00002000
	s_mul_i32 s61, s77, s73                                    // 0000000032F0: 923D494D
	s_add_u32 s60, s61, s60                                    // 0000000032F4: 803C3C3D
	s_add_u32 s12, s60, s12                                    // 0000000032F8: 800C0C3C
	s_addc_u32 s13, 0, s13                                     // 0000000032FC: 820D0D80
	s_mul_i32 s60, s70, 0x100                                  // 000000003300: 923CFF46 00000100
	s_mov_b32 s78, 0x400                                       // 000000003308: BECE00FF 00000400
	s_mul_i32 s61, s78, 7                                      // 000000003310: 923D874E
	s_sub_u32 s56, s60, s61                                    // 000000003314: 80B83D3C
	s_mul_i32 s60, s3, 32                                      // 000000003318: 923CA003
	s_mul_i32 s60, 4, s60                                      // 00000000331C: 923C3C84
	s_add_u32 s40, s60, s40                                    // 000000003320: 8028283C
	s_addc_u32 s41, 0, s41                                     // 000000003324: 82292980
	v_and_b32_e32 v44, 15, v0                                  // 000000003328: 2658008F
	v_lshlrev_b32_e32 v8, 2, v44                               // 00000000332C: 24105882
	v_add_u32_e32 v9, 64, v8                                   // 000000003330: 681210C0
	v_lshrrev_b32_e32 v44, 4, v0                               // 000000003334: 20580084
	v_lshlrev_b32_e32 v45, 2, v44                              // 000000003338: 245A5882
	v_and_b32_e32 v44, 15, v0                                  // 00000000333C: 2658008F
	v_lshrrev_b32_e32 v46, 2, v44                              // 000000003340: 205C5882
	v_lshlrev_b32_e32 v46, 6, v46                              // 000000003344: 245C5C86
	v_add_u32_e32 v45, v46, v45                                // 000000003348: 685A5B2E
	v_and_b32_e32 v44, 3, v0                                   // 00000000334C: 26580083
	v_add_u32_e32 v45, v44, v45                                // 000000003350: 685A5B2C
	v_lshlrev_b32_e32 v10, 2, v45                              // 000000003354: 24145A82
	v_add_u32_e32 v11, 0x400, v10                              // 000000003358: 681614FF 00000400
	s_mul_i32 s60, s5, 16                                      // 000000003360: 923C9005
	s_mul_i32 s60, s60, 4                                      // 000000003364: 923C843C
	v_add_u32_e32 v10, s60, v10                                // 000000003368: 6814143C
	v_add_u32_e32 v11, s60, v11                                // 00000000336C: 6816163C
	v_mov_b32_e32 v5, v10                                      // 000000003370: 7E0A030A
	v_mov_b32_e32 v6, v10                                      // 000000003374: 7E0C030A
	s_mul_i32 s60, s2, 0x200                                   // 000000003378: 923CFF02 00000200
	s_mul_i32 s60, s60, 4                                      // 000000003380: 923C843C
	s_mul_i32 s61, s77, s74                                    // 000000003384: 923D4A4D
	s_add_u32 s61, s61, s60                                    // 000000003388: 803D3C3D
	s_mul_i32 s62, s77, s76                                    // 00000000338C: 923E4C4D
	s_add_u32 s62, s62, s60                                    // 000000003390: 803E3C3E
	s_add_u32 s32, s61, s32                                    // 000000003394: 8020203D
	s_addc_u32 s33, 0, s33                                     // 000000003398: 82212180
	s_add_u32 s36, s62, s36                                    // 00000000339C: 8024243E
	s_addc_u32 s37, 0, s37                                     // 0000000033A0: 82252580
	s_mul_i32 s60, s77, s75                                    // 0000000033A4: 923C4B4D
	s_add_u32 s16, s60, s16                                    // 0000000033A8: 8010103C
	s_addc_u32 s17, 0, s17                                     // 0000000033AC: 82111180
	s_add_u32 s28, s60, s28                                    // 0000000033B0: 801C1C3C
	s_addc_u32 s29, 0, s29                                     // 0000000033B4: 821D1D80
	s_mov_b32 s57, 0x200                                       // 0000000033B8: BEB900FF 00000200
	s_mov_b32 s58, 0x1000                                      // 0000000033C0: BEBA00FF 00001000
	s_mov_b32 s79, 0x400                                       // 0000000033C8: BECF00FF 00000400
	s_mov_b32 s91, 0x400                                       // 0000000033D0: BEDB00FF 00000400
	s_mov_b32 s59, 0x200                                       // 0000000033D8: BEBB00FF 00000200
	s_mov_b32 s90, s58                                         // 0000000033E0: BEDA003A
	s_mov_b32 s52, 0x7060302                                   // 0000000033E4: BEB400FF 07060302
	s_mov_b32 s53, 0x400                                       // 0000000033EC: BEB500FF 00000400
	s_mov_b32 s54, 0x40100                                     // 0000000033F4: BEB600FF 00040100
	s_mov_b32 s55, 0x4020100                                   // 0000000033FC: BEB700FF 04020100
	s_mov_b32 s6, 0x3fb8aa3b                                   // 000000003404: BE8600FF 3FB8AA3B
	s_mov_b32 s7, 0x3fb8aa3b                                   // 00000000340C: BE8700FF 3FB8AA3B
	s_mov_b32 s3, 0xbd92220c                                   // 000000003414: BE8300FF BD92220C
	s_mov_b32 s4, 0xbd92220c                                   // 00000000341C: BE8400FF BD92220C
	s_mov_b32 m0, s50                                          // 000000003424: BEFC0032
	v_mov_b32_e32 v56, 0xbfcc4231                              // 000000003428: 7E7002FF BFCC4231
	v_mov_b32_e32 v57, 0xbfcc4231                              // 000000003430: 7E7202FF BFCC4231
	v_mov_b32_e32 v53, 0xffff0000                              // 000000003438: 7E6A02FF FFFF0000
	v_mov_b32_e32 v54, 0x7fff0000                              // 000000003440: 7E6C02FF 7FFF0000
	v_mov_b32_e32 v55, 0x7fff                                  // 000000003448: 7E6E02FF 00007FFF
	buffer_load_dword v20, v8, s[40:43], 0 offen               // 000000003450: E0501000 800A1408
	buffer_load_dword v21, v9, s[40:43], 0 offen               // 000000003458: E0501000 800A1509
	buffer_load_dword v16, v10, s[32:35], 0 offen              // 000000003460: E0501000 8008100A
	buffer_load_dword v17, v11, s[32:35], 0 offen              // 000000003468: E0501000 8008110B
	s_mul_i32 s60, 4, s65                                      // 000000003470: 923C4184
	s_add_u32 s32, s60, s32                                    // 000000003474: 8020203C
	s_addc_u32 s33, 0, s33                                     // 000000003478: 82212180
	buffer_load_dword v8, v10, s[32:35], 0 offen               // 00000000347C: E0501000 8008080A
	buffer_load_dword v9, v11, s[32:35], 0 offen               // 000000003484: E0501000 8008090B
	buffer_load_dword v18, v10, s[36:39], 0 offen              // 00000000348C: E0501000 8009120A
	buffer_load_dword v19, v11, s[36:39], 0 offen              // 000000003494: E0501000 8009130B
	buffer_load_dword v14, v6, s[28:31], 0 offen               // 00000000349C: E0501000 80070E06
	s_add_u32 s28, s91, s28                                    // 0000000034A4: 801C1C5B
	s_addc_u32 s29, 0, s29                                     // 0000000034A8: 821D1D80
	buffer_load_dword v28, s[20:23], 0 offen lds               // 0000000034AC: E0511000 8005001C
	buffer_load_dword v28, s[20:23], 0 offen offset:256 lds    // 0000000034B4: E0511100 8005001C
	s_add_u32 m0, 0x820, s50                                   // 0000000034BC: 807C32FF 00000820
	buffer_load_dword v29, s[20:23], 0 offen lds               // 0000000034C4: E0511000 8005001D
	buffer_load_dword v29, s[20:23], 0 offen offset:256 lds    // 0000000034CC: E0511100 8005001D
	s_add_u32 m0, 0x1040, s50                                  // 0000000034D4: 807C32FF 00001040
	buffer_load_dword v30, s[20:23], 0 offen lds               // 0000000034DC: E0511000 8005001E
	buffer_load_dword v30, s[20:23], 0 offen offset:256 lds    // 0000000034E4: E0511100 8005001E
	s_add_u32 m0, 0x1860, s50                                  // 0000000034EC: 807C32FF 00001860
	buffer_load_dword v31, s[20:23], 0 offen lds               // 0000000034F4: E0511000 8005001F
	buffer_load_dword v31, s[20:23], 0 offen offset:256 lds    // 0000000034FC: E0511100 8005001F
	s_add_u32 m0, 0x2080, s50                                  // 000000003504: 807C32FF 00002080
	buffer_load_dword v32, s[20:23], 0 offen lds               // 00000000350C: E0511000 80050020
	buffer_load_dword v32, s[20:23], 0 offen offset:256 lds    // 000000003514: E0511100 80050020
	s_add_u32 m0, 0x28a0, s50                                  // 00000000351C: 807C32FF 000028A0
	buffer_load_dword v33, s[20:23], 0 offen lds               // 000000003524: E0511000 80050021
	buffer_load_dword v33, s[20:23], 0 offen offset:256 lds    // 00000000352C: E0511100 80050021
	s_add_u32 m0, 0x30c0, s50                                  // 000000003534: 807C32FF 000030C0
	buffer_load_dword v34, s[20:23], 0 offen lds               // 00000000353C: E0511000 80050022
	buffer_load_dword v34, s[20:23], 0 offen offset:256 lds    // 000000003544: E0511100 80050022
	s_add_u32 m0, 0x38e0, s50                                  // 00000000354C: 807C32FF 000038E0
	buffer_load_dword v35, s[20:23], 0 offen lds               // 000000003554: E0511000 80050023
	buffer_load_dword v35, s[20:23], 0 offen offset:256 lds    // 00000000355C: E0511100 80050023
	s_add_u32 m0, 0, s51                                       // 000000003564: 807C3380
	s_add_u32 s20, s57, s20                                    // 000000003568: 80141439
	s_addc_u32 s21, 0, s21                                     // 00000000356C: 82151580
	buffer_load_dwordx4 a[0:3], v36, s[24:27], 0 offen         // 000000003570: E05C1000 80860024
	buffer_load_dwordx4 a[4:7], v36, s[24:27], 0 offen offset:1024// 000000003578: E05C1400 80860424
	buffer_load_dwordx4 a[8:11], v36, s[24:27], 0 offen offset:2048// 000000003580: E05C1800 80860824
	buffer_load_dwordx4 a[12:15], v36, s[24:27], 0 offen offset:3072// 000000003588: E05C1C00 80860C24
	buffer_load_dwordx4 a[16:19], v37, s[24:27], 0 offen       // 000000003590: E05C1000 80861025
	buffer_load_dwordx4 a[20:23], v37, s[24:27], 0 offen offset:1024// 000000003598: E05C1400 80861425
	buffer_load_dwordx4 a[24:27], v37, s[24:27], 0 offen offset:2048// 0000000035A0: E05C1800 80861825
	buffer_load_dwordx4 a[28:31], v37, s[24:27], 0 offen offset:3072// 0000000035A8: E05C1C00 80861C25
	buffer_load_dwordx4 a[32:35], v38, s[24:27], 0 offen       // 0000000035B0: E05C1000 80862026
	buffer_load_dwordx4 a[36:39], v38, s[24:27], 0 offen offset:1024// 0000000035B8: E05C1400 80862426
	buffer_load_dwordx4 a[40:43], v38, s[24:27], 0 offen offset:2048// 0000000035C0: E05C1800 80862826
	buffer_load_dwordx4 a[44:47], v38, s[24:27], 0 offen offset:3072// 0000000035C8: E05C1C00 80862C26
	buffer_load_dwordx4 a[48:51], v39, s[24:27], 0 offen       // 0000000035D0: E05C1000 80863027
	buffer_load_dwordx4 a[52:55], v39, s[24:27], 0 offen offset:1024// 0000000035D8: E05C1400 80863427
	buffer_load_dwordx4 a[56:59], v39, s[24:27], 0 offen offset:2048// 0000000035E0: E05C1800 80863827
	buffer_load_dwordx4 a[60:63], v39, s[24:27], 0 offen offset:3072// 0000000035E8: E05C1C00 80863C27
	buffer_load_dwordx4 a[64:67], v40, s[24:27], 0 offen       // 0000000035F0: E05C1000 80864028
	buffer_load_dwordx4 a[68:71], v40, s[24:27], 0 offen offset:1024// 0000000035F8: E05C1400 80864428
	buffer_load_dwordx4 a[72:75], v40, s[24:27], 0 offen offset:2048// 000000003600: E05C1800 80864828
	buffer_load_dwordx4 a[76:79], v40, s[24:27], 0 offen offset:3072// 000000003608: E05C1C00 80864C28
	buffer_load_dwordx4 a[80:83], v41, s[24:27], 0 offen       // 000000003610: E05C1000 80865029
	buffer_load_dwordx4 a[84:87], v41, s[24:27], 0 offen offset:1024// 000000003618: E05C1400 80865429
	buffer_load_dwordx4 a[88:91], v41, s[24:27], 0 offen offset:2048// 000000003620: E05C1800 80865829
	buffer_load_dwordx4 a[92:95], v41, s[24:27], 0 offen offset:3072// 000000003628: E05C1C00 80865C29
	buffer_load_dwordx4 a[96:99], v42, s[24:27], 0 offen       // 000000003630: E05C1000 8086602A
	buffer_load_dwordx4 a[100:103], v42, s[24:27], 0 offen offset:1024// 000000003638: E05C1400 8086642A
	buffer_load_dwordx4 a[104:107], v42, s[24:27], 0 offen offset:2048// 000000003640: E05C1800 8086682A
	buffer_load_dwordx4 a[108:111], v42, s[24:27], 0 offen offset:3072// 000000003648: E05C1C00 80866C2A
	buffer_load_dwordx4 a[112:115], v43, s[24:27], 0 offen     // 000000003650: E05C1000 8086702B
	buffer_load_dwordx4 a[116:119], v43, s[24:27], 0 offen offset:1024// 000000003658: E05C1400 8086742B
	buffer_load_dwordx4 a[120:123], v43, s[24:27], 0 offen offset:2048// 000000003660: E05C1800 8086782B
	buffer_load_dwordx4 a[124:127], v43, s[24:27], 0 offen offset:3072// 000000003668: E05C1C00 80867C2B
	s_add_u32 s24, s58, s24                                    // 000000003670: 8018183A
	s_addc_u32 s25, 0, s25                                     // 000000003674: 82191980
	v_mov_b32_e32 v128, 0                                      // 000000003678: 7F000280
	v_mov_b32_e32 v64, 0                                       // 00000000367C: 7E800280
	v_mov_b32_e32 v129, 0                                      // 000000003680: 7F020280
	v_mov_b32_e32 v65, 0                                       // 000000003684: 7E820280
	v_mov_b32_e32 v130, 0                                      // 000000003688: 7F040280
	v_mov_b32_e32 v66, 0                                       // 00000000368C: 7E840280
	v_mov_b32_e32 v131, 0                                      // 000000003690: 7F060280
	v_mov_b32_e32 v67, 0                                       // 000000003694: 7E860280
	v_mov_b32_e32 v132, 0                                      // 000000003698: 7F080280
	v_mov_b32_e32 v68, 0                                       // 00000000369C: 7E880280
	v_mov_b32_e32 v133, 0                                      // 0000000036A0: 7F0A0280
	v_mov_b32_e32 v69, 0                                       // 0000000036A4: 7E8A0280
	v_mov_b32_e32 v134, 0                                      // 0000000036A8: 7F0C0280
	v_mov_b32_e32 v70, 0                                       // 0000000036AC: 7E8C0280
	v_mov_b32_e32 v135, 0                                      // 0000000036B0: 7F0E0280
	v_mov_b32_e32 v71, 0                                       // 0000000036B4: 7E8E0280
	v_mov_b32_e32 v136, 0                                      // 0000000036B8: 7F100280
	v_mov_b32_e32 v72, 0                                       // 0000000036BC: 7E900280
	v_mov_b32_e32 v137, 0                                      // 0000000036C0: 7F120280
	v_mov_b32_e32 v73, 0                                       // 0000000036C4: 7E920280
	v_mov_b32_e32 v138, 0                                      // 0000000036C8: 7F140280
	v_mov_b32_e32 v74, 0                                       // 0000000036CC: 7E940280
	v_mov_b32_e32 v139, 0                                      // 0000000036D0: 7F160280
	v_mov_b32_e32 v75, 0                                       // 0000000036D4: 7E960280
	v_mov_b32_e32 v140, 0                                      // 0000000036D8: 7F180280
	v_mov_b32_e32 v76, 0                                       // 0000000036DC: 7E980280
	v_mov_b32_e32 v141, 0                                      // 0000000036E0: 7F1A0280
	v_mov_b32_e32 v77, 0                                       // 0000000036E4: 7E9A0280
	v_mov_b32_e32 v142, 0                                      // 0000000036E8: 7F1C0280
	v_mov_b32_e32 v78, 0                                       // 0000000036EC: 7E9C0280
	v_mov_b32_e32 v143, 0                                      // 0000000036F0: 7F1E0280
	v_mov_b32_e32 v79, 0                                       // 0000000036F4: 7E9E0280
	v_mov_b32_e32 v144, 0                                      // 0000000036F8: 7F200280
	v_mov_b32_e32 v80, 0                                       // 0000000036FC: 7EA00280
	v_mov_b32_e32 v145, 0                                      // 000000003700: 7F220280
	v_mov_b32_e32 v81, 0                                       // 000000003704: 7EA20280
	v_mov_b32_e32 v146, 0                                      // 000000003708: 7F240280
	v_mov_b32_e32 v82, 0                                       // 00000000370C: 7EA40280
	v_mov_b32_e32 v147, 0                                      // 000000003710: 7F260280
	v_mov_b32_e32 v83, 0                                       // 000000003714: 7EA60280
	v_mov_b32_e32 v148, 0                                      // 000000003718: 7F280280
	v_mov_b32_e32 v84, 0                                       // 00000000371C: 7EA80280
	v_mov_b32_e32 v149, 0                                      // 000000003720: 7F2A0280
	v_mov_b32_e32 v85, 0                                       // 000000003724: 7EAA0280
	v_mov_b32_e32 v150, 0                                      // 000000003728: 7F2C0280
	v_mov_b32_e32 v86, 0                                       // 00000000372C: 7EAC0280
	v_mov_b32_e32 v151, 0                                      // 000000003730: 7F2E0280
	v_mov_b32_e32 v87, 0                                       // 000000003734: 7EAE0280
	v_mov_b32_e32 v152, 0                                      // 000000003738: 7F300280
	v_mov_b32_e32 v88, 0                                       // 00000000373C: 7EB00280
	v_mov_b32_e32 v153, 0                                      // 000000003740: 7F320280
	v_mov_b32_e32 v89, 0                                       // 000000003744: 7EB20280
	v_mov_b32_e32 v154, 0                                      // 000000003748: 7F340280
	v_mov_b32_e32 v90, 0                                       // 00000000374C: 7EB40280
	v_mov_b32_e32 v155, 0                                      // 000000003750: 7F360280
	v_mov_b32_e32 v91, 0                                       // 000000003754: 7EB60280
	v_mov_b32_e32 v156, 0                                      // 000000003758: 7F380280
	v_mov_b32_e32 v92, 0                                       // 00000000375C: 7EB80280
	v_mov_b32_e32 v157, 0                                      // 000000003760: 7F3A0280
	v_mov_b32_e32 v93, 0                                       // 000000003764: 7EBA0280
	v_mov_b32_e32 v158, 0                                      // 000000003768: 7F3C0280
	v_mov_b32_e32 v94, 0                                       // 00000000376C: 7EBC0280
	v_mov_b32_e32 v159, 0                                      // 000000003770: 7F3E0280
	v_mov_b32_e32 v95, 0                                       // 000000003774: 7EBE0280
	v_mov_b32_e32 v160, 0                                      // 000000003778: 7F400280
	v_mov_b32_e32 v96, 0                                       // 00000000377C: 7EC00280
	v_mov_b32_e32 v161, 0                                      // 000000003780: 7F420280
	v_mov_b32_e32 v97, 0                                       // 000000003784: 7EC20280
	v_mov_b32_e32 v162, 0                                      // 000000003788: 7F440280
	v_mov_b32_e32 v98, 0                                       // 00000000378C: 7EC40280
	v_mov_b32_e32 v163, 0                                      // 000000003790: 7F460280
	v_mov_b32_e32 v99, 0                                       // 000000003794: 7EC60280
	v_mov_b32_e32 v164, 0                                      // 000000003798: 7F480280
	v_mov_b32_e32 v100, 0                                      // 00000000379C: 7EC80280
	v_mov_b32_e32 v165, 0                                      // 0000000037A0: 7F4A0280
	v_mov_b32_e32 v101, 0                                      // 0000000037A4: 7ECA0280
	v_mov_b32_e32 v166, 0                                      // 0000000037A8: 7F4C0280
	v_mov_b32_e32 v102, 0                                      // 0000000037AC: 7ECC0280
	v_mov_b32_e32 v167, 0                                      // 0000000037B0: 7F4E0280
	v_mov_b32_e32 v103, 0                                      // 0000000037B4: 7ECE0280
	v_mov_b32_e32 v168, 0                                      // 0000000037B8: 7F500280
	v_mov_b32_e32 v104, 0                                      // 0000000037BC: 7ED00280
	v_mov_b32_e32 v169, 0                                      // 0000000037C0: 7F520280
	v_mov_b32_e32 v105, 0                                      // 0000000037C4: 7ED20280
	v_mov_b32_e32 v170, 0                                      // 0000000037C8: 7F540280
	v_mov_b32_e32 v106, 0                                      // 0000000037CC: 7ED40280
	v_mov_b32_e32 v171, 0                                      // 0000000037D0: 7F560280
	v_mov_b32_e32 v107, 0                                      // 0000000037D4: 7ED60280
	v_mov_b32_e32 v172, 0                                      // 0000000037D8: 7F580280
	v_mov_b32_e32 v108, 0                                      // 0000000037DC: 7ED80280
	v_mov_b32_e32 v173, 0                                      // 0000000037E0: 7F5A0280
	v_mov_b32_e32 v109, 0                                      // 0000000037E4: 7EDA0280
	v_mov_b32_e32 v174, 0                                      // 0000000037E8: 7F5C0280
	v_mov_b32_e32 v110, 0                                      // 0000000037EC: 7EDC0280
	v_mov_b32_e32 v175, 0                                      // 0000000037F0: 7F5E0280
	v_mov_b32_e32 v111, 0                                      // 0000000037F4: 7EDE0280
	v_mov_b32_e32 v176, 0                                      // 0000000037F8: 7F600280
	v_mov_b32_e32 v112, 0                                      // 0000000037FC: 7EE00280
	v_mov_b32_e32 v177, 0                                      // 000000003800: 7F620280
	v_mov_b32_e32 v113, 0                                      // 000000003804: 7EE20280
	v_mov_b32_e32 v178, 0                                      // 000000003808: 7F640280
	v_mov_b32_e32 v114, 0                                      // 00000000380C: 7EE40280
	v_mov_b32_e32 v179, 0                                      // 000000003810: 7F660280
	v_mov_b32_e32 v115, 0                                      // 000000003814: 7EE60280
	v_mov_b32_e32 v180, 0                                      // 000000003818: 7F680280
	v_mov_b32_e32 v116, 0                                      // 00000000381C: 7EE80280
	v_mov_b32_e32 v181, 0                                      // 000000003820: 7F6A0280
	v_mov_b32_e32 v117, 0                                      // 000000003824: 7EEA0280
	v_mov_b32_e32 v182, 0                                      // 000000003828: 7F6C0280
	v_mov_b32_e32 v118, 0                                      // 00000000382C: 7EEC0280
	v_mov_b32_e32 v183, 0                                      // 000000003830: 7F6E0280
	v_mov_b32_e32 v119, 0                                      // 000000003834: 7EEE0280
	v_mov_b32_e32 v184, 0                                      // 000000003838: 7F700280
	v_mov_b32_e32 v120, 0                                      // 00000000383C: 7EF00280
	v_mov_b32_e32 v185, 0                                      // 000000003840: 7F720280
	v_mov_b32_e32 v121, 0                                      // 000000003844: 7EF20280
	v_mov_b32_e32 v186, 0                                      // 000000003848: 7F740280
	v_mov_b32_e32 v122, 0                                      // 00000000384C: 7EF40280
	v_mov_b32_e32 v187, 0                                      // 000000003850: 7F760280
	v_mov_b32_e32 v123, 0                                      // 000000003854: 7EF60280
	v_mov_b32_e32 v188, 0                                      // 000000003858: 7F780280
	v_mov_b32_e32 v124, 0                                      // 00000000385C: 7EF80280
	v_mov_b32_e32 v189, 0                                      // 000000003860: 7F7A0280
	v_mov_b32_e32 v125, 0                                      // 000000003864: 7EFA0280
	v_mov_b32_e32 v190, 0                                      // 000000003868: 7F7C0280
	v_mov_b32_e32 v126, 0                                      // 00000000386C: 7EFC0280
	v_mov_b32_e32 v191, 0                                      // 000000003870: 7F7E0280
	v_mov_b32_e32 v127, 0                                      // 000000003874: 7EFE0280
	s_waitcnt vmcnt(32)                                        // 000000003878: BF8C8F70
	s_barrier                                                  // 00000000387C: BF8A0000
	ds_read_b64 v[192:193], v2 offset:2048                     // 000000003880: D8EC0800 C0000002
	ds_read_b64 v[196:197], v2 offset:10368                    // 000000003888: D8EC2880 C4000002
	ds_read_b64 v[200:201], v2 offset:2176                     // 000000003890: D8EC0880 C8000002
	ds_read_b64 v[204:205], v2 offset:10496                    // 000000003898: D8EC2900 CC000002
	ds_read_b64 v[208:209], v2 offset:2304                     // 0000000038A0: D8EC0900 D0000002
	ds_read_b64 v[212:213], v2 offset:10624                    // 0000000038A8: D8EC2980 D4000002
	ds_read_b64 v[216:217], v2 offset:2432                     // 0000000038B0: D8EC0980 D8000002
	ds_read_b64 v[220:221], v2 offset:10752                    // 0000000038B8: D8EC2A00 DC000002
	s_waitcnt lgkmcnt(0)                                       // 0000000038C0: BF8CC07F
	v_and_b32_e32 v195, 0xffff0000, v193                       // 0000000038C4: 278782FF FFFF0000
	v_lshlrev_b32_e32 v194, 16, v193                           // 0000000038CC: 25858290
	v_and_b32_e32 v193, 0xffff0000, v192                       // 0000000038D0: 278380FF FFFF0000
	v_lshlrev_b32_e32 v192, 16, v192                           // 0000000038D8: 25818090
	v_and_b32_e32 v199, 0xffff0000, v197                       // 0000000038DC: 278F8AFF FFFF0000
	v_lshlrev_b32_e32 v198, 16, v197                           // 0000000038E4: 258D8A90
	v_and_b32_e32 v197, 0xffff0000, v196                       // 0000000038E8: 278B88FF FFFF0000
	v_lshlrev_b32_e32 v196, 16, v196                           // 0000000038F0: 25898890
	v_and_b32_e32 v203, 0xffff0000, v201                       // 0000000038F4: 279792FF FFFF0000
	v_lshlrev_b32_e32 v202, 16, v201                           // 0000000038FC: 25959290
	v_and_b32_e32 v201, 0xffff0000, v200                       // 000000003900: 279390FF FFFF0000
	v_lshlrev_b32_e32 v200, 16, v200                           // 000000003908: 25919090
	v_and_b32_e32 v207, 0xffff0000, v205                       // 00000000390C: 279F9AFF FFFF0000
	v_lshlrev_b32_e32 v206, 16, v205                           // 000000003914: 259D9A90
	v_and_b32_e32 v205, 0xffff0000, v204                       // 000000003918: 279B98FF FFFF0000
	v_lshlrev_b32_e32 v204, 16, v204                           // 000000003920: 25999890
	v_and_b32_e32 v211, 0xffff0000, v209                       // 000000003924: 27A7A2FF FFFF0000
	v_lshlrev_b32_e32 v210, 16, v209                           // 00000000392C: 25A5A290
	v_and_b32_e32 v209, 0xffff0000, v208                       // 000000003930: 27A3A0FF FFFF0000
	v_lshlrev_b32_e32 v208, 16, v208                           // 000000003938: 25A1A090
	v_and_b32_e32 v215, 0xffff0000, v213                       // 00000000393C: 27AFAAFF FFFF0000
	v_lshlrev_b32_e32 v214, 16, v213                           // 000000003944: 25ADAA90
	v_and_b32_e32 v213, 0xffff0000, v212                       // 000000003948: 27ABA8FF FFFF0000
	v_lshlrev_b32_e32 v212, 16, v212                           // 000000003950: 25A9A890
	v_and_b32_e32 v219, 0xffff0000, v217                       // 000000003954: 27B7B2FF FFFF0000
	v_lshlrev_b32_e32 v218, 16, v217                           // 00000000395C: 25B5B290
	v_and_b32_e32 v217, 0xffff0000, v216                       // 000000003960: 27B3B0FF FFFF0000
	v_lshlrev_b32_e32 v216, 16, v216                           // 000000003968: 25B1B090
	v_and_b32_e32 v223, 0xffff0000, v221                       // 00000000396C: 27BFBAFF FFFF0000
	v_lshlrev_b32_e32 v222, 16, v221                           // 000000003974: 25BDBA90
	v_and_b32_e32 v221, 0xffff0000, v220                       // 000000003978: 27BBB8FF FFFF0000
	v_lshlrev_b32_e32 v220, 16, v220                           // 000000003980: 25B9B890
	v_mul_f32_dpp v192, v14, v192 row_newbcast:0 row_mask:0xf bank_mask:0xf// 000000003984: 0B8180FA FF01500E
	v_mul_f32_dpp v193, v14, v193 row_newbcast:1 row_mask:0xf bank_mask:0xf// 00000000398C: 0B8382FA FF01510E
	v_mul_f32_dpp v194, v14, v194 row_newbcast:2 row_mask:0xf bank_mask:0xf// 000000003994: 0B8584FA FF01520E
	v_mul_f32_dpp v195, v14, v195 row_newbcast:3 row_mask:0xf bank_mask:0xf// 00000000399C: 0B8786FA FF01530E
	v_mul_f32_dpp v196, v14, v196 row_newbcast:0 row_mask:0xf bank_mask:0xf// 0000000039A4: 0B8988FA FF01500E
	v_mul_f32_dpp v197, v14, v197 row_newbcast:1 row_mask:0xf bank_mask:0xf// 0000000039AC: 0B8B8AFA FF01510E
	v_mul_f32_dpp v198, v14, v198 row_newbcast:2 row_mask:0xf bank_mask:0xf// 0000000039B4: 0B8D8CFA FF01520E
	v_mul_f32_dpp v199, v14, v199 row_newbcast:3 row_mask:0xf bank_mask:0xf// 0000000039BC: 0B8F8EFA FF01530E
	v_mul_f32_dpp v200, v14, v200 row_newbcast:4 row_mask:0xf bank_mask:0xf// 0000000039C4: 0B9190FA FF01540E
	v_mul_f32_dpp v201, v14, v201 row_newbcast:5 row_mask:0xf bank_mask:0xf// 0000000039CC: 0B9392FA FF01550E
	v_mul_f32_dpp v202, v14, v202 row_newbcast:6 row_mask:0xf bank_mask:0xf// 0000000039D4: 0B9594FA FF01560E
	v_mul_f32_dpp v203, v14, v203 row_newbcast:7 row_mask:0xf bank_mask:0xf// 0000000039DC: 0B9796FA FF01570E
	v_mul_f32_dpp v204, v14, v204 row_newbcast:4 row_mask:0xf bank_mask:0xf// 0000000039E4: 0B9998FA FF01540E
	v_mul_f32_dpp v205, v14, v205 row_newbcast:5 row_mask:0xf bank_mask:0xf// 0000000039EC: 0B9B9AFA FF01550E
	v_mul_f32_dpp v206, v14, v206 row_newbcast:6 row_mask:0xf bank_mask:0xf// 0000000039F4: 0B9D9CFA FF01560E
	v_mul_f32_dpp v207, v14, v207 row_newbcast:7 row_mask:0xf bank_mask:0xf// 0000000039FC: 0B9F9EFA FF01570E
	v_mul_f32_dpp v208, v14, v208 row_newbcast:8 row_mask:0xf bank_mask:0xf// 000000003A04: 0BA1A0FA FF01580E
	v_mul_f32_dpp v209, v14, v209 row_newbcast:9 row_mask:0xf bank_mask:0xf// 000000003A0C: 0BA3A2FA FF01590E
	v_mul_f32_dpp v210, v14, v210 row_newbcast:10 row_mask:0xf bank_mask:0xf// 000000003A14: 0BA5A4FA FF015A0E
	v_mul_f32_dpp v211, v14, v211 row_newbcast:11 row_mask:0xf bank_mask:0xf// 000000003A1C: 0BA7A6FA FF015B0E
	v_mul_f32_dpp v212, v14, v212 row_newbcast:8 row_mask:0xf bank_mask:0xf// 000000003A24: 0BA9A8FA FF01580E
	v_mul_f32_dpp v213, v14, v213 row_newbcast:9 row_mask:0xf bank_mask:0xf// 000000003A2C: 0BABAAFA FF01590E
	v_mul_f32_dpp v214, v14, v214 row_newbcast:10 row_mask:0xf bank_mask:0xf// 000000003A34: 0BADACFA FF015A0E
	v_mul_f32_dpp v215, v14, v215 row_newbcast:11 row_mask:0xf bank_mask:0xf// 000000003A3C: 0BAFAEFA FF015B0E
	v_mul_f32_dpp v216, v14, v216 row_newbcast:12 row_mask:0xf bank_mask:0xf// 000000003A44: 0BB1B0FA FF015C0E
	v_mul_f32_dpp v217, v14, v217 row_newbcast:13 row_mask:0xf bank_mask:0xf// 000000003A4C: 0BB3B2FA FF015D0E
	v_mul_f32_dpp v218, v14, v218 row_newbcast:14 row_mask:0xf bank_mask:0xf// 000000003A54: 0BB5B4FA FF015E0E
	v_mul_f32_dpp v219, v14, v219 row_newbcast:15 row_mask:0xf bank_mask:0xf// 000000003A5C: 0BB7B6FA FF015F0E
	v_mul_f32_dpp v220, v14, v220 row_newbcast:12 row_mask:0xf bank_mask:0xf// 000000003A64: 0BB9B8FA FF015C0E
	v_mul_f32_dpp v221, v14, v221 row_newbcast:13 row_mask:0xf bank_mask:0xf// 000000003A6C: 0BBBBAFA FF015D0E
	v_mul_f32_dpp v222, v14, v222 row_newbcast:14 row_mask:0xf bank_mask:0xf// 000000003A74: 0BBDBCFA FF015E0E
	v_mul_f32_dpp v223, v14, v223 row_newbcast:15 row_mask:0xf bank_mask:0xf// 000000003A7C: 0BBFBEFA FF015F0E
	v_mov_b32_e32 v48, 0x358637bd                              // 000000003A84: 7E6002FF 358637BD
	v_mov_b32_e32 v49, 0x358637bd                              // 000000003A8C: 7E6202FF 358637BD
	v_max3_f32 v48, |v192|, |v193|, v48                        // 000000003A94: D1D30330 04C383C0
	v_max3_f32 v48, |v194|, |v195|, v48                        // 000000003A9C: D1D30330 04C387C2
	v_max3_f32 v49, |v196|, |v197|, v49                        // 000000003AA4: D1D30331 04C78BC4
	v_max3_f32 v49, |v198|, |v199|, v49                        // 000000003AAC: D1D30331 04C78FC6
	v_max3_f32 v48, |v200|, |v201|, v48                        // 000000003AB4: D1D30330 04C393C8
	v_max3_f32 v48, |v202|, |v203|, v48                        // 000000003ABC: D1D30330 04C397CA
	v_max3_f32 v49, |v204|, |v205|, v49                        // 000000003AC4: D1D30331 04C79BCC
	v_max3_f32 v49, |v206|, |v207|, v49                        // 000000003ACC: D1D30331 04C79FCE
	v_max3_f32 v48, |v208|, |v209|, v48                        // 000000003AD4: D1D30330 04C3A3D0
	v_max3_f32 v48, |v210|, |v211|, v48                        // 000000003ADC: D1D30330 04C3A7D2
	v_max3_f32 v49, |v212|, |v213|, v49                        // 000000003AE4: D1D30331 04C7ABD4
	v_max3_f32 v49, |v214|, |v215|, v49                        // 000000003AEC: D1D30331 04C7AFD6
	v_max3_f32 v48, |v216|, |v217|, v48                        // 000000003AF4: D1D30330 04C3B3D8
	v_max3_f32 v48, |v218|, |v219|, v48                        // 000000003AFC: D1D30330 04C3B7DA
	v_max3_f32 v49, |v220|, |v221|, v49                        // 000000003B04: D1D30331 04C7BBDC
	v_max3_f32 v49, |v222|, |v223|, v49                        // 000000003B0C: D1D30331 04C7BFDE
	ds_write_b64 v3, v[48:49]                                  // 000000003B14: D89A0000 00003003
	s_waitcnt lgkmcnt(0)                                       // 000000003B1C: BF8CC07F
	s_barrier                                                  // 000000003B20: BF8A0000
	ds_read_b64 v[48:49], v4                                   // 000000003B24: D8EC0000 30000004
	ds_read_b64 v[50:51], v4 offset:128                        // 000000003B2C: D8EC0080 32000004
	ds_read_b64 v[52:53], v4 offset:256                        // 000000003B34: D8EC0100 34000004
	ds_read_b64 v[54:55], v4 offset:384                        // 000000003B3C: D8EC0180 36000004
	ds_read_b64 v[56:57], v4 offset:512                        // 000000003B44: D8EC0200 38000004
	ds_read_b64 v[58:59], v4 offset:640                        // 000000003B4C: D8EC0280 3A000004
	ds_read_b64 v[60:61], v4 offset:768                        // 000000003B54: D8EC0300 3C000004
	ds_read_b64 v[62:63], v4 offset:896                        // 000000003B5C: D8EC0380 3E000004
	s_waitcnt lgkmcnt(0)                                       // 000000003B64: BF8CC07F
	v_mov_b32_e32 v22, 0x358637bd                              // 000000003B68: 7E2C02FF 358637BD
	v_mov_b32_e32 v23, 0x358637bd                              // 000000003B70: 7E2E02FF 358637BD
	v_max3_f32 v22, |v48|, |v50|, v22                          // 000000003B78: D1D30316 045A6530
	v_max3_f32 v23, |v49|, |v51|, v23                          // 000000003B80: D1D30317 045E6731
	v_max3_f32 v22, |v52|, |v54|, v22                          // 000000003B88: D1D30316 045A6D34
	v_max3_f32 v23, |v53|, |v55|, v23                          // 000000003B90: D1D30317 045E6F35
	v_max3_f32 v22, |v56|, |v58|, v22                          // 000000003B98: D1D30316 045A7538
	v_max3_f32 v23, |v57|, |v59|, v23                          // 000000003BA0: D1D30317 045E7739
	v_max3_f32 v22, |v60|, |v62|, v22                          // 000000003BA8: D1D30316 045A7D3C
	v_max3_f32 v23, |v61|, |v63|, v23                          // 000000003BB0: D1D30317 045E7F3D
	ds_read_b64 v[48:49], v4 offset:1024                       // 000000003BB8: D8EC0400 30000004
	ds_read_b64 v[50:51], v4 offset:1152                       // 000000003BC0: D8EC0480 32000004
	ds_read_b64 v[52:53], v4 offset:1280                       // 000000003BC8: D8EC0500 34000004
	ds_read_b64 v[54:55], v4 offset:1408                       // 000000003BD0: D8EC0580 36000004
	ds_read_b64 v[56:57], v4 offset:1536                       // 000000003BD8: D8EC0600 38000004
	ds_read_b64 v[58:59], v4 offset:1664                       // 000000003BE0: D8EC0680 3A000004
	ds_read_b64 v[60:61], v4 offset:1792                       // 000000003BE8: D8EC0700 3C000004
	ds_read_b64 v[62:63], v4 offset:1920                       // 000000003BF0: D8EC0780 3E000004
	s_waitcnt lgkmcnt(0)                                       // 000000003BF8: BF8CC07F
	v_max3_f32 v22, |v48|, |v50|, v22                          // 000000003BFC: D1D30316 045A6530
	v_max3_f32 v23, |v49|, |v51|, v23                          // 000000003C04: D1D30317 045E6731
	v_max3_f32 v22, |v52|, |v54|, v22                          // 000000003C0C: D1D30316 045A6D34
	v_max3_f32 v23, |v53|, |v55|, v23                          // 000000003C14: D1D30317 045E6F35
	v_max3_f32 v22, |v56|, |v58|, v22                          // 000000003C1C: D1D30316 045A7538
	v_max3_f32 v23, |v57|, |v59|, v23                          // 000000003C24: D1D30317 045E7739
	v_max3_f32 v22, |v60|, |v62|, v22                          // 000000003C2C: D1D30316 045A7D3C
	v_max3_f32 v23, |v61|, |v63|, v23                          // 000000003C34: D1D30317 045E7F3D
	v_mov_b32_e32 v44, 0x43700000                              // 000000003C3C: 7E5802FF 43700000
	v_rcp_f32_e32 v22, v22                                     // 000000003C44: 7E2C4516
	v_rcp_f32_e32 v23, v23                                     // 000000003C48: 7E2E4517
	s_nop 1                                                    // 000000003C4C: BF800001
	v_mul_f32_e32 v22, v44, v22                                // 000000003C50: 0A2C2D2C
	v_mul_f32_e32 v23, v44, v23                                // 000000003C54: 0A2E2F2C
	v_rcp_f32_e32 v24, v22                                     // 000000003C58: 7E304516
	v_rcp_f32_e32 v25, v23                                     // 000000003C5C: 7E324517
	v_mov_b32_e32 v44, v22                                     // 000000003C60: 7E580316
	v_mov_b32_e32 v45, v22                                     // 000000003C64: 7E5A0316
	v_mov_b32_e32 v46, v23                                     // 000000003C68: 7E5C0317
	v_mov_b32_e32 v47, v23                                     // 000000003C6C: 7E5E0317
	v_pk_mul_f32 v[192:193], v[44:45], v[192:193]              // 000000003C70: D3B140C0 1803812C
	v_pk_mul_f32 v[194:195], v[44:45], v[194:195]              // 000000003C78: D3B140C2 1803852C
	v_cvt_pk_fp8_f32 v192, v192, v193                          // 000000003C80: D2A200C0 000383C0
	v_cvt_pk_fp8_f32 v192, v194, v195 op_sel:[0,0,1]           // 000000003C88: D2A240C0 000387C2
	v_pk_mul_f32 v[196:197], v[46:47], v[196:197]              // 000000003C90: D3B140C4 1803892E
	v_pk_mul_f32 v[198:199], v[46:47], v[198:199]              // 000000003C98: D3B140C6 18038D2E
	v_cvt_pk_fp8_f32 v193, v196, v197                          // 000000003CA0: D2A200C1 00038BC4
	v_cvt_pk_fp8_f32 v193, v198, v199 op_sel:[0,0,1]           // 000000003CA8: D2A240C1 00038FC6
	v_pk_mul_f32 v[200:201], v[44:45], v[200:201]              // 000000003CB0: D3B140C8 1803912C
	v_pk_mul_f32 v[202:203], v[44:45], v[202:203]              // 000000003CB8: D3B140CA 1803952C
	v_cvt_pk_fp8_f32 v194, v200, v201                          // 000000003CC0: D2A200C2 000393C8
	v_cvt_pk_fp8_f32 v194, v202, v203 op_sel:[0,0,1]           // 000000003CC8: D2A240C2 000397CA
	v_pk_mul_f32 v[204:205], v[46:47], v[204:205]              // 000000003CD0: D3B140CC 1803992E
	v_pk_mul_f32 v[206:207], v[46:47], v[206:207]              // 000000003CD8: D3B140CE 18039D2E
	v_cvt_pk_fp8_f32 v195, v204, v205                          // 000000003CE0: D2A200C3 00039BCC
	v_cvt_pk_fp8_f32 v195, v206, v207 op_sel:[0,0,1]           // 000000003CE8: D2A240C3 00039FCE
	v_pk_mul_f32 v[208:209], v[44:45], v[208:209]              // 000000003CF0: D3B140D0 1803A12C
	v_pk_mul_f32 v[210:211], v[44:45], v[210:211]              // 000000003CF8: D3B140D2 1803A52C
	v_cvt_pk_fp8_f32 v196, v208, v209                          // 000000003D00: D2A200C4 0003A3D0
	v_cvt_pk_fp8_f32 v196, v210, v211 op_sel:[0,0,1]           // 000000003D08: D2A240C4 0003A7D2
	v_pk_mul_f32 v[212:213], v[46:47], v[212:213]              // 000000003D10: D3B140D4 1803A92E
	v_pk_mul_f32 v[214:215], v[46:47], v[214:215]              // 000000003D18: D3B140D6 1803AD2E
	v_cvt_pk_fp8_f32 v197, v212, v213                          // 000000003D20: D2A200C5 0003ABD4
	v_cvt_pk_fp8_f32 v197, v214, v215 op_sel:[0,0,1]           // 000000003D28: D2A240C5 0003AFD6
	v_pk_mul_f32 v[216:217], v[44:45], v[216:217]              // 000000003D30: D3B140D8 1803B12C
	v_pk_mul_f32 v[218:219], v[44:45], v[218:219]              // 000000003D38: D3B140DA 1803B52C
	v_cvt_pk_fp8_f32 v198, v216, v217                          // 000000003D40: D2A200C6 0003B3D8
	v_cvt_pk_fp8_f32 v198, v218, v219 op_sel:[0,0,1]           // 000000003D48: D2A240C6 0003B7DA
	v_pk_mul_f32 v[220:221], v[46:47], v[220:221]              // 000000003D50: D3B140DC 1803B92E
	v_pk_mul_f32 v[222:223], v[46:47], v[222:223]              // 000000003D58: D3B140DE 1803BD2E
	v_cvt_pk_fp8_f32 v199, v220, v221                          // 000000003D60: D2A200C7 0003BBDC
	v_cvt_pk_fp8_f32 v199, v222, v223 op_sel:[0,0,1]           // 000000003D68: D2A240C7 0003BFDE
	ds_write_b32 v12, v192 offset:2048                         // 000000003D70: D81A0800 0000C00C
	ds_write_b32 v12, v193 offset:6144                         // 000000003D78: D81A1800 0000C10C
	ds_write_b32 v12, v194 offset:3072                         // 000000003D80: D81A0C00 0000C20C
	ds_write_b32 v12, v195 offset:7168                         // 000000003D88: D81A1C00 0000C30C
	ds_write_b32 v12, v196 offset:4096                         // 000000003D90: D81A1000 0000C40C
	ds_write_b32 v12, v197 offset:8192                         // 000000003D98: D81A2000 0000C50C
	ds_write_b32 v12, v198 offset:5120                         // 000000003DA0: D81A1400 0000C60C
	ds_write_b32 v12, v199 offset:9216                         // 000000003DA8: D81A2400 0000C70C
	s_waitcnt lgkmcnt(0)                                       // 000000003DB0: BF8CC07F
	s_barrier                                                  // 000000003DB4: BF8A0000
	ds_read_b64 v[192:193], v13 offset:2048                    // 000000003DB8: D8EC0800 C000000D
	ds_read_b64 v[194:195], v13 offset:2176                    // 000000003DC0: D8EC0880 C200000D
	ds_read_b64 v[196:197], v13 offset:3072                    // 000000003DC8: D8EC0C00 C400000D
	ds_read_b64 v[198:199], v13 offset:3200                    // 000000003DD0: D8EC0C80 C600000D
	ds_read_b64 v[200:201], v13 offset:4096                    // 000000003DD8: D8EC1000 C800000D
	ds_read_b64 v[202:203], v13 offset:4224                    // 000000003DE0: D8EC1080 CA00000D
	ds_read_b64 v[204:205], v13 offset:5120                    // 000000003DE8: D8EC1400 CC00000D
	ds_read_b64 v[206:207], v13 offset:5248                    // 000000003DF0: D8EC1480 CE00000D
	ds_read_b64 v[208:209], v13 offset:6144                    // 000000003DF8: D8EC1800 D000000D
	ds_read_b64 v[210:211], v13 offset:6272                    // 000000003E00: D8EC1880 D200000D
	ds_read_b64 v[212:213], v13 offset:7168                    // 000000003E08: D8EC1C00 D400000D
	ds_read_b64 v[214:215], v13 offset:7296                    // 000000003E10: D8EC1C80 D600000D
	ds_read_b64 v[216:217], v13 offset:8192                    // 000000003E18: D8EC2000 D800000D
	ds_read_b64 v[218:219], v13 offset:8320                    // 000000003E20: D8EC2080 DA00000D
	ds_read_b64 v[220:221], v13 offset:9216                    // 000000003E28: D8EC2400 DC00000D
	ds_read_b64 v[222:223], v13 offset:9344                    // 000000003E30: D8EC2480 DE00000D
	s_cmp_lt_i32 s5, 2                                         // 000000003E38: BF048205
	s_cbranch_scc0 label_1A83                                  // 000000003E3C: BF841673

0000000000003e40 <label_0410>:
	v_rcp_f32_e32 v44, v24                                     // 000000003E40: 7E584518
	v_rcp_f32_e32 v46, v25                                     // 000000003E44: 7E5C4519
	v_mov_b32_e32 v45, v44                                     // 000000003E48: 7E5A032C
	v_mov_b32_e32 v47, v46                                     // 000000003E4C: 7E5E032E
	v_pk_mul_f32 v[128:129], v[44:45], v[128:129]              // 000000003E50: D3B14080 1803012C
	v_pk_mul_f32 v[130:131], v[44:45], v[130:131]              // 000000003E58: D3B14082 1803052C
	v_pk_mul_f32 v[132:133], v[46:47], v[132:133]              // 000000003E60: D3B14084 1803092E
	v_pk_mul_f32 v[134:135], v[46:47], v[134:135]              // 000000003E68: D3B14086 18030D2E
	v_pk_mul_f32 v[136:137], v[44:45], v[136:137]              // 000000003E70: D3B14088 1803112C
	v_pk_mul_f32 v[138:139], v[44:45], v[138:139]              // 000000003E78: D3B1408A 1803152C
	v_pk_mul_f32 v[140:141], v[46:47], v[140:141]              // 000000003E80: D3B1408C 1803192E
	v_pk_mul_f32 v[142:143], v[46:47], v[142:143]              // 000000003E88: D3B1408E 18031D2E
	v_pk_mul_f32 v[144:145], v[44:45], v[144:145]              // 000000003E90: D3B14090 1803212C
	v_pk_mul_f32 v[146:147], v[44:45], v[146:147]              // 000000003E98: D3B14092 1803252C
	v_pk_mul_f32 v[148:149], v[46:47], v[148:149]              // 000000003EA0: D3B14094 1803292E
	v_pk_mul_f32 v[150:151], v[46:47], v[150:151]              // 000000003EA8: D3B14096 18032D2E
	v_pk_mul_f32 v[152:153], v[44:45], v[152:153]              // 000000003EB0: D3B14098 1803312C
	v_pk_mul_f32 v[154:155], v[44:45], v[154:155]              // 000000003EB8: D3B1409A 1803352C
	v_pk_mul_f32 v[156:157], v[46:47], v[156:157]              // 000000003EC0: D3B1409C 1803392E
	v_pk_mul_f32 v[158:159], v[46:47], v[158:159]              // 000000003EC8: D3B1409E 18033D2E
	v_pk_mul_f32 v[160:161], v[44:45], v[160:161]              // 000000003ED0: D3B140A0 1803412C
	v_pk_mul_f32 v[162:163], v[44:45], v[162:163]              // 000000003ED8: D3B140A2 1803452C
	v_pk_mul_f32 v[164:165], v[46:47], v[164:165]              // 000000003EE0: D3B140A4 1803492E
	v_pk_mul_f32 v[166:167], v[46:47], v[166:167]              // 000000003EE8: D3B140A6 18034D2E
	v_pk_mul_f32 v[168:169], v[44:45], v[168:169]              // 000000003EF0: D3B140A8 1803512C
	v_pk_mul_f32 v[170:171], v[44:45], v[170:171]              // 000000003EF8: D3B140AA 1803552C
	v_pk_mul_f32 v[172:173], v[46:47], v[172:173]              // 000000003F00: D3B140AC 1803592E
	v_pk_mul_f32 v[174:175], v[46:47], v[174:175]              // 000000003F08: D3B140AE 18035D2E
	v_pk_mul_f32 v[176:177], v[44:45], v[176:177]              // 000000003F10: D3B140B0 1803612C
	v_pk_mul_f32 v[178:179], v[44:45], v[178:179]              // 000000003F18: D3B140B2 1803652C
	v_pk_mul_f32 v[180:181], v[46:47], v[180:181]              // 000000003F20: D3B140B4 1803692E
	v_pk_mul_f32 v[182:183], v[46:47], v[182:183]              // 000000003F28: D3B140B6 18036D2E
	v_pk_mul_f32 v[184:185], v[44:45], v[184:185]              // 000000003F30: D3B140B8 1803712C
	v_pk_mul_f32 v[186:187], v[44:45], v[186:187]              // 000000003F38: D3B140BA 1803752C
	v_pk_mul_f32 v[188:189], v[46:47], v[188:189]              // 000000003F40: D3B140BC 1803792E
	v_pk_mul_f32 v[190:191], v[46:47], v[190:191]              // 000000003F48: D3B140BE 18037D2E
	s_waitcnt vmcnt(24) lgkmcnt(0)                             // 000000003F50: BF8C4078
	s_barrier                                                  // 000000003F54: BF8A0000
	v_mfma_f32_16x16x32_fp8_fp8 v[128:131], a[0:1], v[192:193], v[128:131]// 000000003F58: D3F30080 0E038100
	v_mfma_f32_16x16x32_fp8_fp8 v[128:131], a[2:3], v[194:195], v[128:131]// 000000003F60: D3F30080 0E038502
	buffer_load_dwordx4 a[128:131], v36, s[92:95], 0 offen     // 000000003F68: E05C1000 80978024
	v_mfma_f32_16x16x32_fp8_fp8 v[128:131], a[4:5], v[196:197], v[128:131]// 000000003F70: D3F30080 0E038904
	v_mfma_f32_16x16x32_fp8_fp8 v[128:131], a[6:7], v[198:199], v[128:131]// 000000003F78: D3F30080 0E038D06
	buffer_load_dword v28, s[20:23], 0 offen lds               // 000000003F80: E0511000 8005001C
	buffer_load_dword v28, s[20:23], 0 offen offset:256 lds    // 000000003F88: E0511100 8005001C
	s_add_u32 m0, 0x820, s51                                   // 000000003F90: 807C33FF 00000820
	v_mfma_f32_16x16x32_fp8_fp8 v[128:131], a[8:9], v[200:201], v[128:131]// 000000003F98: D3F30080 0E039108
	v_mfma_f32_16x16x32_fp8_fp8 v[128:131], a[10:11], v[202:203], v[128:131]// 000000003FA0: D3F30080 0E03950A
	buffer_load_dwordx4 a[132:135], v36, s[92:95], 0 offen offset:1024// 000000003FA8: E05C1400 80978424
	v_mfma_f32_16x16x32_fp8_fp8 v[128:131], a[12:13], v[204:205], v[128:131]// 000000003FB0: D3F30080 0E03990C
	v_mfma_f32_16x16x32_fp8_fp8 v[128:131], a[14:15], v[206:207], v[128:131]// 000000003FB8: D3F30080 0E039D0E
	buffer_load_dword v29, s[20:23], 0 offen lds               // 000000003FC0: E0511000 8005001D
	buffer_load_dword v29, s[20:23], 0 offen offset:256 lds    // 000000003FC8: E0511100 8005001D
	s_add_u32 m0, 0x1040, s51                                  // 000000003FD0: 807C33FF 00001040
	v_mfma_f32_16x16x32_fp8_fp8 v[132:135], a[0:1], v[208:209], v[132:135]// 000000003FD8: D3F30084 0E13A100
	v_mfma_f32_16x16x32_fp8_fp8 v[132:135], a[2:3], v[210:211], v[132:135]// 000000003FE0: D3F30084 0E13A502
	buffer_load_dwordx4 a[136:139], v36, s[92:95], 0 offen offset:2048// 000000003FE8: E05C1800 80978824
	v_mfma_f32_16x16x32_fp8_fp8 v[132:135], a[4:5], v[212:213], v[132:135]// 000000003FF0: D3F30084 0E13A904
	v_mfma_f32_16x16x32_fp8_fp8 v[132:135], a[6:7], v[214:215], v[132:135]// 000000003FF8: D3F30084 0E13AD06
	buffer_load_dword v30, s[20:23], 0 offen lds               // 000000004000: E0511000 8005001E
	buffer_load_dword v30, s[20:23], 0 offen offset:256 lds    // 000000004008: E0511100 8005001E
	s_add_u32 m0, 0x1860, s51                                  // 000000004010: 807C33FF 00001860
	v_mfma_f32_16x16x32_fp8_fp8 v[132:135], a[8:9], v[216:217], v[132:135]// 000000004018: D3F30084 0E13B108
	v_mfma_f32_16x16x32_fp8_fp8 v[132:135], a[10:11], v[218:219], v[132:135]// 000000004020: D3F30084 0E13B50A
	buffer_load_dwordx4 a[140:143], v36, s[92:95], 0 offen offset:3072// 000000004028: E05C1C00 80978C24
	v_mfma_f32_16x16x32_fp8_fp8 v[132:135], a[12:13], v[220:221], v[132:135]// 000000004030: D3F30084 0E13B90C
	v_mfma_f32_16x16x32_fp8_fp8 v[132:135], a[14:15], v[222:223], v[132:135]// 000000004038: D3F30084 0E13BD0E
	buffer_load_dword v31, s[20:23], 0 offen lds               // 000000004040: E0511000 8005001F
	buffer_load_dword v31, s[20:23], 0 offen offset:256 lds    // 000000004048: E0511100 8005001F
	s_add_u32 m0, 0x2080, s51                                  // 000000004050: 807C33FF 00002080
	v_mfma_f32_16x16x32_fp8_fp8 v[136:139], a[16:17], v[192:193], v[136:139]// 000000004058: D3F30088 0E238110
	v_mfma_f32_16x16x32_fp8_fp8 v[136:139], a[18:19], v[194:195], v[136:139]// 000000004060: D3F30088 0E238512
	buffer_load_dwordx4 a[144:147], v37, s[92:95], 0 offen     // 000000004068: E05C1000 80979025
	v_mfma_f32_16x16x32_fp8_fp8 v[136:139], a[20:21], v[196:197], v[136:139]// 000000004070: D3F30088 0E238914
	v_mfma_f32_16x16x32_fp8_fp8 v[136:139], a[22:23], v[198:199], v[136:139]// 000000004078: D3F30088 0E238D16
	buffer_load_dword v32, s[20:23], 0 offen lds               // 000000004080: E0511000 80050020
	buffer_load_dword v32, s[20:23], 0 offen offset:256 lds    // 000000004088: E0511100 80050020
	s_add_u32 m0, 0x28a0, s51                                  // 000000004090: 807C33FF 000028A0
	v_mfma_f32_16x16x32_fp8_fp8 v[136:139], a[24:25], v[200:201], v[136:139]// 000000004098: D3F30088 0E239118
	v_mfma_f32_16x16x32_fp8_fp8 v[136:139], a[26:27], v[202:203], v[136:139]// 0000000040A0: D3F30088 0E23951A
	buffer_load_dwordx4 a[148:151], v37, s[92:95], 0 offen offset:1024// 0000000040A8: E05C1400 80979425
	v_mfma_f32_16x16x32_fp8_fp8 v[136:139], a[28:29], v[204:205], v[136:139]// 0000000040B0: D3F30088 0E23991C
	v_mfma_f32_16x16x32_fp8_fp8 v[136:139], a[30:31], v[206:207], v[136:139]// 0000000040B8: D3F30088 0E239D1E
	buffer_load_dword v33, s[20:23], 0 offen lds               // 0000000040C0: E0511000 80050021
	buffer_load_dword v33, s[20:23], 0 offen offset:256 lds    // 0000000040C8: E0511100 80050021
	s_add_u32 m0, 0x30c0, s51                                  // 0000000040D0: 807C33FF 000030C0
	v_mfma_f32_16x16x32_fp8_fp8 v[140:143], a[16:17], v[208:209], v[140:143]// 0000000040D8: D3F3008C 0E33A110
	v_mfma_f32_16x16x32_fp8_fp8 v[140:143], a[18:19], v[210:211], v[140:143]// 0000000040E0: D3F3008C 0E33A512
	buffer_load_dwordx4 a[152:155], v37, s[92:95], 0 offen offset:2048// 0000000040E8: E05C1800 80979825
	v_mfma_f32_16x16x32_fp8_fp8 v[140:143], a[20:21], v[212:213], v[140:143]// 0000000040F0: D3F3008C 0E33A914
	v_mfma_f32_16x16x32_fp8_fp8 v[140:143], a[22:23], v[214:215], v[140:143]// 0000000040F8: D3F3008C 0E33AD16
	buffer_load_dword v34, s[20:23], 0 offen lds               // 000000004100: E0511000 80050022
	buffer_load_dword v34, s[20:23], 0 offen offset:256 lds    // 000000004108: E0511100 80050022
	s_add_u32 m0, 0x38e0, s51                                  // 000000004110: 807C33FF 000038E0
	v_mfma_f32_16x16x32_fp8_fp8 v[140:143], a[24:25], v[216:217], v[140:143]// 000000004118: D3F3008C 0E33B118
	v_mfma_f32_16x16x32_fp8_fp8 v[140:143], a[26:27], v[218:219], v[140:143]// 000000004120: D3F3008C 0E33B51A
	buffer_load_dwordx4 a[156:159], v37, s[92:95], 0 offen offset:3072// 000000004128: E05C1C00 80979C25
	v_mfma_f32_16x16x32_fp8_fp8 v[140:143], a[28:29], v[220:221], v[140:143]// 000000004130: D3F3008C 0E33B91C
	v_mfma_f32_16x16x32_fp8_fp8 v[140:143], a[30:31], v[222:223], v[140:143]// 000000004138: D3F3008C 0E33BD1E
	buffer_load_dword v35, s[20:23], 0 offen lds               // 000000004140: E0511000 80050023
	buffer_load_dword v35, s[20:23], 0 offen offset:256 lds    // 000000004148: E0511100 80050023
	s_add_u32 m0, 0, s50                                       // 000000004150: 807C3280
	buffer_load_dword v15, v6, s[28:31], 0 offen               // 000000004154: E0501000 80070F06
	s_waitcnt vmcnt(45)                                        // 00000000415C: BF8C8F7D
	v_mfma_f32_16x16x32_fp8_fp8 v[144:147], a[32:33], v[192:193], v[144:147]// 000000004160: D3F30090 0E438120
	v_mfma_f32_16x16x32_fp8_fp8 v[144:147], a[34:35], v[194:195], v[144:147]// 000000004168: D3F30090 0E438522
	buffer_load_dwordx4 a[160:163], v38, s[92:95], 0 offen     // 000000004170: E05C1000 8097A026
	v_mfma_f32_16x16x32_fp8_fp8 v[144:147], a[36:37], v[196:197], v[144:147]// 000000004178: D3F30090 0E438924
	v_mfma_f32_16x16x32_fp8_fp8 v[144:147], a[38:39], v[198:199], v[144:147]// 000000004180: D3F30090 0E438D26
	v_mfma_f32_16x16x32_fp8_fp8 v[144:147], a[40:41], v[200:201], v[144:147]// 000000004188: D3F30090 0E439128
	v_mfma_f32_16x16x32_fp8_fp8 v[144:147], a[42:43], v[202:203], v[144:147]// 000000004190: D3F30090 0E43952A
	buffer_load_dwordx4 a[164:167], v38, s[92:95], 0 offen offset:1024// 000000004198: E05C1400 8097A426
	v_mfma_f32_16x16x32_fp8_fp8 v[144:147], a[44:45], v[204:205], v[144:147]// 0000000041A0: D3F30090 0E43992C
	v_mfma_f32_16x16x32_fp8_fp8 v[144:147], a[46:47], v[206:207], v[144:147]// 0000000041A8: D3F30090 0E439D2E
	v_mfma_f32_16x16x32_fp8_fp8 v[148:151], a[32:33], v[208:209], v[148:151]// 0000000041B0: D3F30094 0E53A120
	v_mfma_f32_16x16x32_fp8_fp8 v[148:151], a[34:35], v[210:211], v[148:151]// 0000000041B8: D3F30094 0E53A522
	buffer_load_dwordx4 a[168:171], v38, s[92:95], 0 offen offset:2048// 0000000041C0: E05C1800 8097A826
	v_mfma_f32_16x16x32_fp8_fp8 v[148:151], a[36:37], v[212:213], v[148:151]// 0000000041C8: D3F30094 0E53A924
	v_mfma_f32_16x16x32_fp8_fp8 v[148:151], a[38:39], v[214:215], v[148:151]// 0000000041D0: D3F30094 0E53AD26
	v_mfma_f32_16x16x32_fp8_fp8 v[148:151], a[40:41], v[216:217], v[148:151]// 0000000041D8: D3F30094 0E53B128
	v_mfma_f32_16x16x32_fp8_fp8 v[148:151], a[42:43], v[218:219], v[148:151]// 0000000041E0: D3F30094 0E53B52A
	buffer_load_dwordx4 a[172:175], v38, s[92:95], 0 offen offset:3072// 0000000041E8: E05C1C00 8097AC26
	v_mfma_f32_16x16x32_fp8_fp8 v[148:151], a[44:45], v[220:221], v[148:151]// 0000000041F0: D3F30094 0E53B92C
	v_mfma_f32_16x16x32_fp8_fp8 v[148:151], a[46:47], v[222:223], v[148:151]// 0000000041F8: D3F30094 0E53BD2E
	s_waitcnt vmcnt(45)                                        // 000000004200: BF8C8F7D
	v_mfma_f32_16x16x32_fp8_fp8 v[152:155], a[48:49], v[192:193], v[152:155]// 000000004204: D3F30098 0E638130
	v_mfma_f32_16x16x32_fp8_fp8 v[152:155], a[50:51], v[194:195], v[152:155]// 00000000420C: D3F30098 0E638532
	buffer_load_dwordx4 a[176:179], v39, s[92:95], 0 offen     // 000000004214: E05C1000 8097B027
	v_mfma_f32_16x16x32_fp8_fp8 v[152:155], a[52:53], v[196:197], v[152:155]// 00000000421C: D3F30098 0E638934
	v_mfma_f32_16x16x32_fp8_fp8 v[152:155], a[54:55], v[198:199], v[152:155]// 000000004224: D3F30098 0E638D36
	v_mfma_f32_16x16x32_fp8_fp8 v[152:155], a[56:57], v[200:201], v[152:155]// 00000000422C: D3F30098 0E639138
	v_mfma_f32_16x16x32_fp8_fp8 v[152:155], a[58:59], v[202:203], v[152:155]// 000000004234: D3F30098 0E63953A
	buffer_load_dwordx4 a[180:183], v39, s[92:95], 0 offen offset:1024// 00000000423C: E05C1400 8097B427
	v_mfma_f32_16x16x32_fp8_fp8 v[152:155], a[60:61], v[204:205], v[152:155]// 000000004244: D3F30098 0E63993C
	v_mfma_f32_16x16x32_fp8_fp8 v[152:155], a[62:63], v[206:207], v[152:155]// 00000000424C: D3F30098 0E639D3E
	v_mfma_f32_16x16x32_fp8_fp8 v[156:159], a[48:49], v[208:209], v[156:159]// 000000004254: D3F3009C 0E73A130
	v_mfma_f32_16x16x32_fp8_fp8 v[156:159], a[50:51], v[210:211], v[156:159]// 00000000425C: D3F3009C 0E73A532
	buffer_load_dwordx4 a[184:187], v39, s[92:95], 0 offen offset:2048// 000000004264: E05C1800 8097B827
	v_mfma_f32_16x16x32_fp8_fp8 v[156:159], a[52:53], v[212:213], v[156:159]// 00000000426C: D3F3009C 0E73A934
	v_mfma_f32_16x16x32_fp8_fp8 v[156:159], a[54:55], v[214:215], v[156:159]// 000000004274: D3F3009C 0E73AD36
	v_mfma_f32_16x16x32_fp8_fp8 v[156:159], a[56:57], v[216:217], v[156:159]// 00000000427C: D3F3009C 0E73B138
	v_mfma_f32_16x16x32_fp8_fp8 v[156:159], a[58:59], v[218:219], v[156:159]// 000000004284: D3F3009C 0E73B53A
	buffer_load_dwordx4 a[188:191], v39, s[92:95], 0 offen offset:3072// 00000000428C: E05C1C00 8097BC27
	v_mfma_f32_16x16x32_fp8_fp8 v[156:159], a[60:61], v[220:221], v[156:159]// 000000004294: D3F3009C 0E73B93C
	v_mfma_f32_16x16x32_fp8_fp8 v[156:159], a[62:63], v[222:223], v[156:159]// 00000000429C: D3F3009C 0E73BD3E
	s_waitcnt vmcnt(45)                                        // 0000000042A4: BF8C8F7D
	v_mfma_f32_16x16x32_fp8_fp8 v[160:163], a[64:65], v[192:193], v[160:163]// 0000000042A8: D3F300A0 0E838140
	v_mfma_f32_16x16x32_fp8_fp8 v[160:163], a[66:67], v[194:195], v[160:163]// 0000000042B0: D3F300A0 0E838542
	buffer_load_dwordx4 a[192:195], v40, s[92:95], 0 offen     // 0000000042B8: E05C1000 8097C028
	v_mfma_f32_16x16x32_fp8_fp8 v[160:163], a[68:69], v[196:197], v[160:163]// 0000000042C0: D3F300A0 0E838944
	v_mfma_f32_16x16x32_fp8_fp8 v[160:163], a[70:71], v[198:199], v[160:163]// 0000000042C8: D3F300A0 0E838D46
	v_mfma_f32_16x16x32_fp8_fp8 v[160:163], a[72:73], v[200:201], v[160:163]// 0000000042D0: D3F300A0 0E839148
	v_mfma_f32_16x16x32_fp8_fp8 v[160:163], a[74:75], v[202:203], v[160:163]// 0000000042D8: D3F300A0 0E83954A
	buffer_load_dwordx4 a[196:199], v40, s[92:95], 0 offen offset:1024// 0000000042E0: E05C1400 8097C428
	v_mfma_f32_16x16x32_fp8_fp8 v[160:163], a[76:77], v[204:205], v[160:163]// 0000000042E8: D3F300A0 0E83994C
	v_mfma_f32_16x16x32_fp8_fp8 v[160:163], a[78:79], v[206:207], v[160:163]// 0000000042F0: D3F300A0 0E839D4E
	v_mfma_f32_16x16x32_fp8_fp8 v[164:167], a[64:65], v[208:209], v[164:167]// 0000000042F8: D3F300A4 0E93A140
	v_mfma_f32_16x16x32_fp8_fp8 v[164:167], a[66:67], v[210:211], v[164:167]// 000000004300: D3F300A4 0E93A542
	buffer_load_dwordx4 a[200:203], v40, s[92:95], 0 offen offset:2048// 000000004308: E05C1800 8097C828
	v_mfma_f32_16x16x32_fp8_fp8 v[164:167], a[68:69], v[212:213], v[164:167]// 000000004310: D3F300A4 0E93A944
	v_mfma_f32_16x16x32_fp8_fp8 v[164:167], a[70:71], v[214:215], v[164:167]// 000000004318: D3F300A4 0E93AD46
	v_mfma_f32_16x16x32_fp8_fp8 v[164:167], a[72:73], v[216:217], v[164:167]// 000000004320: D3F300A4 0E93B148
	v_mfma_f32_16x16x32_fp8_fp8 v[164:167], a[74:75], v[218:219], v[164:167]// 000000004328: D3F300A4 0E93B54A
	buffer_load_dwordx4 a[204:207], v40, s[92:95], 0 offen offset:3072// 000000004330: E05C1C00 8097CC28
	v_mfma_f32_16x16x32_fp8_fp8 v[164:167], a[76:77], v[220:221], v[164:167]// 000000004338: D3F300A4 0E93B94C
	v_mfma_f32_16x16x32_fp8_fp8 v[164:167], a[78:79], v[222:223], v[164:167]// 000000004340: D3F300A4 0E93BD4E
	s_waitcnt vmcnt(45)                                        // 000000004348: BF8C8F7D
	v_mfma_f32_16x16x32_fp8_fp8 v[168:171], a[80:81], v[192:193], v[168:171]// 00000000434C: D3F300A8 0EA38150
	v_mfma_f32_16x16x32_fp8_fp8 v[168:171], a[82:83], v[194:195], v[168:171]// 000000004354: D3F300A8 0EA38552
	buffer_load_dwordx4 a[208:211], v41, s[92:95], 0 offen     // 00000000435C: E05C1000 8097D029
	v_mfma_f32_16x16x32_fp8_fp8 v[168:171], a[84:85], v[196:197], v[168:171]// 000000004364: D3F300A8 0EA38954
	v_mfma_f32_16x16x32_fp8_fp8 v[168:171], a[86:87], v[198:199], v[168:171]// 00000000436C: D3F300A8 0EA38D56
	v_mfma_f32_16x16x32_fp8_fp8 v[168:171], a[88:89], v[200:201], v[168:171]// 000000004374: D3F300A8 0EA39158
	v_mfma_f32_16x16x32_fp8_fp8 v[168:171], a[90:91], v[202:203], v[168:171]// 00000000437C: D3F300A8 0EA3955A
	buffer_load_dwordx4 a[212:215], v41, s[92:95], 0 offen offset:1024// 000000004384: E05C1400 8097D429
	v_mfma_f32_16x16x32_fp8_fp8 v[168:171], a[92:93], v[204:205], v[168:171]// 00000000438C: D3F300A8 0EA3995C
	v_mfma_f32_16x16x32_fp8_fp8 v[168:171], a[94:95], v[206:207], v[168:171]// 000000004394: D3F300A8 0EA39D5E
	v_mfma_f32_16x16x32_fp8_fp8 v[172:175], a[80:81], v[208:209], v[172:175]// 00000000439C: D3F300AC 0EB3A150
	v_mfma_f32_16x16x32_fp8_fp8 v[172:175], a[82:83], v[210:211], v[172:175]// 0000000043A4: D3F300AC 0EB3A552
	buffer_load_dwordx4 a[216:219], v41, s[92:95], 0 offen offset:2048// 0000000043AC: E05C1800 8097D829
	v_mfma_f32_16x16x32_fp8_fp8 v[172:175], a[84:85], v[212:213], v[172:175]// 0000000043B4: D3F300AC 0EB3A954
	v_mfma_f32_16x16x32_fp8_fp8 v[172:175], a[86:87], v[214:215], v[172:175]// 0000000043BC: D3F300AC 0EB3AD56
	v_mfma_f32_16x16x32_fp8_fp8 v[172:175], a[88:89], v[216:217], v[172:175]// 0000000043C4: D3F300AC 0EB3B158
	v_mfma_f32_16x16x32_fp8_fp8 v[172:175], a[90:91], v[218:219], v[172:175]// 0000000043CC: D3F300AC 0EB3B55A
	buffer_load_dwordx4 a[220:223], v41, s[92:95], 0 offen offset:3072// 0000000043D4: E05C1C00 8097DC29
	v_mfma_f32_16x16x32_fp8_fp8 v[172:175], a[92:93], v[220:221], v[172:175]// 0000000043DC: D3F300AC 0EB3B95C
	v_mfma_f32_16x16x32_fp8_fp8 v[172:175], a[94:95], v[222:223], v[172:175]// 0000000043E4: D3F300AC 0EB3BD5E
	s_waitcnt vmcnt(45)                                        // 0000000043EC: BF8C8F7D
	v_mfma_f32_16x16x32_fp8_fp8 v[176:179], a[96:97], v[192:193], v[176:179]// 0000000043F0: D3F300B0 0EC38160
	v_mfma_f32_16x16x32_fp8_fp8 v[176:179], a[98:99], v[194:195], v[176:179]// 0000000043F8: D3F300B0 0EC38562
	buffer_load_dwordx4 a[224:227], v42, s[92:95], 0 offen     // 000000004400: E05C1000 8097E02A
	v_mfma_f32_16x16x32_fp8_fp8 v[176:179], a[100:101], v[196:197], v[176:179]// 000000004408: D3F300B0 0EC38964
	v_mfma_f32_16x16x32_fp8_fp8 v[176:179], a[102:103], v[198:199], v[176:179]// 000000004410: D3F300B0 0EC38D66
	v_mfma_f32_16x16x32_fp8_fp8 v[176:179], a[104:105], v[200:201], v[176:179]// 000000004418: D3F300B0 0EC39168
	v_mfma_f32_16x16x32_fp8_fp8 v[176:179], a[106:107], v[202:203], v[176:179]// 000000004420: D3F300B0 0EC3956A
	buffer_load_dwordx4 a[228:231], v42, s[92:95], 0 offen offset:1024// 000000004428: E05C1400 8097E42A
	v_mfma_f32_16x16x32_fp8_fp8 v[176:179], a[108:109], v[204:205], v[176:179]// 000000004430: D3F300B0 0EC3996C
	v_mfma_f32_16x16x32_fp8_fp8 v[176:179], a[110:111], v[206:207], v[176:179]// 000000004438: D3F300B0 0EC39D6E
	v_mfma_f32_16x16x32_fp8_fp8 v[180:183], a[96:97], v[208:209], v[180:183]// 000000004440: D3F300B4 0ED3A160
	v_mfma_f32_16x16x32_fp8_fp8 v[180:183], a[98:99], v[210:211], v[180:183]// 000000004448: D3F300B4 0ED3A562
	buffer_load_dwordx4 a[232:235], v42, s[92:95], 0 offen offset:2048// 000000004450: E05C1800 8097E82A
	v_mfma_f32_16x16x32_fp8_fp8 v[180:183], a[100:101], v[212:213], v[180:183]// 000000004458: D3F300B4 0ED3A964
	v_mfma_f32_16x16x32_fp8_fp8 v[180:183], a[102:103], v[214:215], v[180:183]// 000000004460: D3F300B4 0ED3AD66
	v_mfma_f32_16x16x32_fp8_fp8 v[180:183], a[104:105], v[216:217], v[180:183]// 000000004468: D3F300B4 0ED3B168
	v_mfma_f32_16x16x32_fp8_fp8 v[180:183], a[106:107], v[218:219], v[180:183]// 000000004470: D3F300B4 0ED3B56A
	buffer_load_dwordx4 a[236:239], v42, s[92:95], 0 offen offset:3072// 000000004478: E05C1C00 8097EC2A
	v_mfma_f32_16x16x32_fp8_fp8 v[180:183], a[108:109], v[220:221], v[180:183]// 000000004480: D3F300B4 0ED3B96C
	v_mfma_f32_16x16x32_fp8_fp8 v[180:183], a[110:111], v[222:223], v[180:183]// 000000004488: D3F300B4 0ED3BD6E
	s_waitcnt vmcnt(45)                                        // 000000004490: BF8C8F7D
	v_mfma_f32_16x16x32_fp8_fp8 v[184:187], a[112:113], v[192:193], v[184:187]// 000000004494: D3F300B8 0EE38170
	v_mfma_f32_16x16x32_fp8_fp8 v[184:187], a[114:115], v[194:195], v[184:187]// 00000000449C: D3F300B8 0EE38572
	buffer_load_dwordx4 a[240:243], v43, s[92:95], 0 offen     // 0000000044A4: E05C1000 8097F02B
	v_mfma_f32_16x16x32_fp8_fp8 v[184:187], a[116:117], v[196:197], v[184:187]// 0000000044AC: D3F300B8 0EE38974
	v_mfma_f32_16x16x32_fp8_fp8 v[184:187], a[118:119], v[198:199], v[184:187]// 0000000044B4: D3F300B8 0EE38D76
	v_mfma_f32_16x16x32_fp8_fp8 v[184:187], a[120:121], v[200:201], v[184:187]// 0000000044BC: D3F300B8 0EE39178
	v_mfma_f32_16x16x32_fp8_fp8 v[184:187], a[122:123], v[202:203], v[184:187]// 0000000044C4: D3F300B8 0EE3957A
	buffer_load_dwordx4 a[244:247], v43, s[92:95], 0 offen offset:1024// 0000000044CC: E05C1400 8097F42B
	v_mfma_f32_16x16x32_fp8_fp8 v[184:187], a[124:125], v[204:205], v[184:187]// 0000000044D4: D3F300B8 0EE3997C
	v_mfma_f32_16x16x32_fp8_fp8 v[184:187], a[126:127], v[206:207], v[184:187]// 0000000044DC: D3F300B8 0EE39D7E
	v_mfma_f32_16x16x32_fp8_fp8 v[188:191], a[112:113], v[208:209], v[188:191]// 0000000044E4: D3F300BC 0EF3A170
	v_mfma_f32_16x16x32_fp8_fp8 v[188:191], a[114:115], v[210:211], v[188:191]// 0000000044EC: D3F300BC 0EF3A572
	buffer_load_dwordx4 a[248:251], v43, s[92:95], 0 offen offset:2048// 0000000044F4: E05C1800 8097F82B
	v_mfma_f32_16x16x32_fp8_fp8 v[188:191], a[116:117], v[212:213], v[188:191]// 0000000044FC: D3F300BC 0EF3A974
	v_mfma_f32_16x16x32_fp8_fp8 v[188:191], a[118:119], v[214:215], v[188:191]// 000000004504: D3F300BC 0EF3AD76
	v_mfma_f32_16x16x32_fp8_fp8 v[188:191], a[120:121], v[216:217], v[188:191]// 00000000450C: D3F300BC 0EF3B178
	v_mfma_f32_16x16x32_fp8_fp8 v[188:191], a[122:123], v[218:219], v[188:191]// 000000004514: D3F300BC 0EF3B57A
	buffer_load_dwordx4 a[252:255], v43, s[92:95], 0 offen offset:3072// 00000000451C: E05C1C00 8097FC2B
	v_mfma_f32_16x16x32_fp8_fp8 v[188:191], a[124:125], v[220:221], v[188:191]// 000000004524: D3F300BC 0EF3B97C
	v_mfma_f32_16x16x32_fp8_fp8 v[188:191], a[126:127], v[222:223], v[188:191]// 00000000452C: D3F300BC 0EF3BD7E
	v_mov_b32_e32 v44, v24                                     // 000000004534: 7E580318
	v_mov_b32_e32 v46, v25                                     // 000000004538: 7E5C0319
	v_mov_b32_e32 v45, v44                                     // 00000000453C: 7E5A032C
	v_mov_b32_e32 v47, v46                                     // 000000004540: 7E5E032E
	v_pk_mul_f32 v[128:129], v[44:45], v[128:129]              // 000000004544: D3B14080 1803012C
	v_pk_mul_f32 v[130:131], v[44:45], v[130:131]              // 00000000454C: D3B14082 1803052C
	v_pk_mul_f32 v[132:133], v[46:47], v[132:133]              // 000000004554: D3B14084 1803092E
	v_pk_mul_f32 v[134:135], v[46:47], v[134:135]              // 00000000455C: D3B14086 18030D2E
	v_pk_mul_f32 v[136:137], v[44:45], v[136:137]              // 000000004564: D3B14088 1803112C
	v_pk_mul_f32 v[138:139], v[44:45], v[138:139]              // 00000000456C: D3B1408A 1803152C
	v_pk_mul_f32 v[140:141], v[46:47], v[140:141]              // 000000004574: D3B1408C 1803192E
	v_pk_mul_f32 v[142:143], v[46:47], v[142:143]              // 00000000457C: D3B1408E 18031D2E
	v_pk_mul_f32 v[144:145], v[44:45], v[144:145]              // 000000004584: D3B14090 1803212C
	v_pk_mul_f32 v[146:147], v[44:45], v[146:147]              // 00000000458C: D3B14092 1803252C
	v_pk_mul_f32 v[148:149], v[46:47], v[148:149]              // 000000004594: D3B14094 1803292E
	v_pk_mul_f32 v[150:151], v[46:47], v[150:151]              // 00000000459C: D3B14096 18032D2E
	v_pk_mul_f32 v[152:153], v[44:45], v[152:153]              // 0000000045A4: D3B14098 1803312C
	v_pk_mul_f32 v[154:155], v[44:45], v[154:155]              // 0000000045AC: D3B1409A 1803352C
	v_pk_mul_f32 v[156:157], v[46:47], v[156:157]              // 0000000045B4: D3B1409C 1803392E
	v_pk_mul_f32 v[158:159], v[46:47], v[158:159]              // 0000000045BC: D3B1409E 18033D2E
	v_pk_mul_f32 v[160:161], v[44:45], v[160:161]              // 0000000045C4: D3B140A0 1803412C
	v_pk_mul_f32 v[162:163], v[44:45], v[162:163]              // 0000000045CC: D3B140A2 1803452C
	v_pk_mul_f32 v[164:165], v[46:47], v[164:165]              // 0000000045D4: D3B140A4 1803492E
	v_pk_mul_f32 v[166:167], v[46:47], v[166:167]              // 0000000045DC: D3B140A6 18034D2E
	v_pk_mul_f32 v[168:169], v[44:45], v[168:169]              // 0000000045E4: D3B140A8 1803512C
	v_pk_mul_f32 v[170:171], v[44:45], v[170:171]              // 0000000045EC: D3B140AA 1803552C
	v_pk_mul_f32 v[172:173], v[46:47], v[172:173]              // 0000000045F4: D3B140AC 1803592E
	v_pk_mul_f32 v[174:175], v[46:47], v[174:175]              // 0000000045FC: D3B140AE 18035D2E
	v_pk_mul_f32 v[176:177], v[44:45], v[176:177]              // 000000004604: D3B140B0 1803612C
	v_pk_mul_f32 v[178:179], v[44:45], v[178:179]              // 00000000460C: D3B140B2 1803652C
	v_pk_mul_f32 v[180:181], v[46:47], v[180:181]              // 000000004614: D3B140B4 1803692E
	v_pk_mul_f32 v[182:183], v[46:47], v[182:183]              // 00000000461C: D3B140B6 18036D2E
	v_pk_mul_f32 v[184:185], v[44:45], v[184:185]              // 000000004624: D3B140B8 1803712C
	v_pk_mul_f32 v[186:187], v[44:45], v[186:187]              // 00000000462C: D3B140BA 1803752C
	v_pk_mul_f32 v[188:189], v[46:47], v[188:189]              // 000000004634: D3B140BC 1803792E
	v_pk_mul_f32 v[190:191], v[46:47], v[190:191]              // 00000000463C: D3B140BE 18037D2E
	v_rcp_f32_e32 v44, v24                                     // 000000004644: 7E584518
	v_rcp_f32_e32 v46, v25                                     // 000000004648: 7E5C4519
	v_mov_b32_e32 v45, v44                                     // 00000000464C: 7E5A032C
	v_mov_b32_e32 v47, v46                                     // 000000004650: 7E5E032E
	v_pk_mul_f32 v[64:65], v[44:45], v[64:65]                  // 000000004654: D3B14040 1802812C
	v_pk_mul_f32 v[66:67], v[44:45], v[66:67]                  // 00000000465C: D3B14042 1802852C
	v_pk_mul_f32 v[68:69], v[46:47], v[68:69]                  // 000000004664: D3B14044 1802892E
	v_pk_mul_f32 v[70:71], v[46:47], v[70:71]                  // 00000000466C: D3B14046 18028D2E
	v_pk_mul_f32 v[72:73], v[44:45], v[72:73]                  // 000000004674: D3B14048 1802912C
	v_pk_mul_f32 v[74:75], v[44:45], v[74:75]                  // 00000000467C: D3B1404A 1802952C
	v_pk_mul_f32 v[76:77], v[46:47], v[76:77]                  // 000000004684: D3B1404C 1802992E
	v_pk_mul_f32 v[78:79], v[46:47], v[78:79]                  // 00000000468C: D3B1404E 18029D2E
	v_pk_mul_f32 v[80:81], v[44:45], v[80:81]                  // 000000004694: D3B14050 1802A12C
	v_pk_mul_f32 v[82:83], v[44:45], v[82:83]                  // 00000000469C: D3B14052 1802A52C
	v_pk_mul_f32 v[84:85], v[46:47], v[84:85]                  // 0000000046A4: D3B14054 1802A92E
	v_pk_mul_f32 v[86:87], v[46:47], v[86:87]                  // 0000000046AC: D3B14056 1802AD2E
	v_pk_mul_f32 v[88:89], v[44:45], v[88:89]                  // 0000000046B4: D3B14058 1802B12C
	v_pk_mul_f32 v[90:91], v[44:45], v[90:91]                  // 0000000046BC: D3B1405A 1802B52C
	v_pk_mul_f32 v[92:93], v[46:47], v[92:93]                  // 0000000046C4: D3B1405C 1802B92E
	v_pk_mul_f32 v[94:95], v[46:47], v[94:95]                  // 0000000046CC: D3B1405E 1802BD2E
	v_pk_mul_f32 v[96:97], v[44:45], v[96:97]                  // 0000000046D4: D3B14060 1802C12C
	v_pk_mul_f32 v[98:99], v[44:45], v[98:99]                  // 0000000046DC: D3B14062 1802C52C
	v_pk_mul_f32 v[100:101], v[46:47], v[100:101]              // 0000000046E4: D3B14064 1802C92E
	v_pk_mul_f32 v[102:103], v[46:47], v[102:103]              // 0000000046EC: D3B14066 1802CD2E
	v_pk_mul_f32 v[104:105], v[44:45], v[104:105]              // 0000000046F4: D3B14068 1802D12C
	v_pk_mul_f32 v[106:107], v[44:45], v[106:107]              // 0000000046FC: D3B1406A 1802D52C
	v_pk_mul_f32 v[108:109], v[46:47], v[108:109]              // 000000004704: D3B1406C 1802D92E
	v_pk_mul_f32 v[110:111], v[46:47], v[110:111]              // 00000000470C: D3B1406E 1802DD2E
	v_pk_mul_f32 v[112:113], v[44:45], v[112:113]              // 000000004714: D3B14070 1802E12C
	v_pk_mul_f32 v[114:115], v[44:45], v[114:115]              // 00000000471C: D3B14072 1802E52C
	v_pk_mul_f32 v[116:117], v[46:47], v[116:117]              // 000000004724: D3B14074 1802E92E
	v_pk_mul_f32 v[118:119], v[46:47], v[118:119]              // 00000000472C: D3B14076 1802ED2E
	v_pk_mul_f32 v[120:121], v[44:45], v[120:121]              // 000000004734: D3B14078 1802F12C
	v_pk_mul_f32 v[122:123], v[44:45], v[122:123]              // 00000000473C: D3B1407A 1802F52C
	v_pk_mul_f32 v[124:125], v[46:47], v[124:125]              // 000000004744: D3B1407C 1802F92E
	v_pk_mul_f32 v[126:127], v[46:47], v[126:127]              // 00000000474C: D3B1407E 1802FD2E
	s_waitcnt vmcnt(24)                                        // 000000004754: BF8C4F78
	s_barrier                                                  // 000000004758: BF8A0000
	v_mfma_f32_16x16x32_fp8_fp8 v[64:67], a[128:129], v[192:193], v[64:67]// 00000000475C: D3F30040 0D038180
	ds_read_b64 v[224:225], v2 offset:18688                    // 000000004764: D8EC4900 E0000002
	ds_read_b64 v[228:229], v2 offset:27008                    // 00000000476C: D8EC6980 E4000002
	v_mfma_f32_16x16x32_fp8_fp8 v[64:67], a[130:131], v[194:195], v[64:67]// 000000004774: D3F30040 0D038582
	buffer_load_dwordx4 a[0:3], v36, s[24:27], 0 offen         // 00000000477C: E05C1000 80860024
	v_mfma_f32_16x16x32_fp8_fp8 v[64:67], a[132:133], v[196:197], v[64:67]// 000000004784: D3F30040 0D038984
	ds_read_b64 v[232:233], v2 offset:18816                    // 00000000478C: D8EC4980 E8000002
	ds_read_b64 v[236:237], v2 offset:27136                    // 000000004794: D8EC6A00 EC000002
	v_mfma_f32_16x16x32_fp8_fp8 v[64:67], a[134:135], v[198:199], v[64:67]// 00000000479C: D3F30040 0D038D86
	v_mfma_f32_16x16x32_fp8_fp8 v[64:67], a[136:137], v[200:201], v[64:67]// 0000000047A4: D3F30040 0D039188
	ds_read_b64 v[240:241], v2 offset:18944                    // 0000000047AC: D8EC4A00 F0000002
	ds_read_b64 v[244:245], v2 offset:27264                    // 0000000047B4: D8EC6A80 F4000002
	v_mfma_f32_16x16x32_fp8_fp8 v[64:67], a[138:139], v[202:203], v[64:67]// 0000000047BC: D3F30040 0D03958A
	buffer_load_dwordx4 a[4:7], v36, s[24:27], 0 offen offset:1024// 0000000047C4: E05C1400 80860424
	v_mfma_f32_16x16x32_fp8_fp8 v[64:67], a[140:141], v[204:205], v[64:67]// 0000000047CC: D3F30040 0D03998C
	ds_read_b64 v[248:249], v2 offset:19072                    // 0000000047D4: D8EC4A80 F8000002
	ds_read_b64 v[252:253], v2 offset:27392                    // 0000000047DC: D8EC6B00 FC000002
	v_mfma_f32_16x16x32_fp8_fp8 v[64:67], a[142:143], v[206:207], v[64:67]// 0000000047E4: D3F30040 0D039D8E
	s_waitcnt lgkmcnt(4)                                       // 0000000047EC: BF8CC47F
	v_and_b32_e32 v227, 0xffff0000, v225                       // 0000000047F0: 27C7C2FF FFFF0000
	v_lshlrev_b32_e32 v226, 16, v225                           // 0000000047F8: 25C5C290
	v_and_b32_e32 v225, 0xffff0000, v224                       // 0000000047FC: 27C3C0FF FFFF0000
	v_lshlrev_b32_e32 v224, 16, v224                           // 000000004804: 25C1C090
	v_and_b32_e32 v231, 0xffff0000, v229                       // 000000004808: 27CFCAFF FFFF0000
	v_lshlrev_b32_e32 v230, 16, v229                           // 000000004810: 25CDCA90
	v_and_b32_e32 v229, 0xffff0000, v228                       // 000000004814: 27CBC8FF FFFF0000
	v_lshlrev_b32_e32 v228, 16, v228                           // 00000000481C: 25C9C890
	v_and_b32_e32 v235, 0xffff0000, v233                       // 000000004820: 27D7D2FF FFFF0000
	v_lshlrev_b32_e32 v234, 16, v233                           // 000000004828: 25D5D290
	v_and_b32_e32 v233, 0xffff0000, v232                       // 00000000482C: 27D3D0FF FFFF0000
	v_lshlrev_b32_e32 v232, 16, v232                           // 000000004834: 25D1D090
	v_and_b32_e32 v239, 0xffff0000, v237                       // 000000004838: 27DFDAFF FFFF0000
	v_lshlrev_b32_e32 v238, 16, v237                           // 000000004840: 25DDDA90
	v_and_b32_e32 v237, 0xffff0000, v236                       // 000000004844: 27DBD8FF FFFF0000
	v_lshlrev_b32_e32 v236, 16, v236                           // 00000000484C: 25D9D890
	v_mul_f32_dpp v224, v15, v224 row_newbcast:0 row_mask:0xf bank_mask:0xf// 000000004850: 0BC1C0FA FF01500F
	v_mul_f32_dpp v225, v15, v225 row_newbcast:1 row_mask:0xf bank_mask:0xf// 000000004858: 0BC3C2FA FF01510F
	v_mul_f32_dpp v226, v15, v226 row_newbcast:2 row_mask:0xf bank_mask:0xf// 000000004860: 0BC5C4FA FF01520F
	v_mul_f32_dpp v227, v15, v227 row_newbcast:3 row_mask:0xf bank_mask:0xf// 000000004868: 0BC7C6FA FF01530F
	v_mul_f32_dpp v228, v15, v228 row_newbcast:0 row_mask:0xf bank_mask:0xf// 000000004870: 0BC9C8FA FF01500F
	v_mul_f32_dpp v229, v15, v229 row_newbcast:1 row_mask:0xf bank_mask:0xf// 000000004878: 0BCBCAFA FF01510F
	v_mul_f32_dpp v230, v15, v230 row_newbcast:2 row_mask:0xf bank_mask:0xf// 000000004880: 0BCDCCFA FF01520F
	v_mul_f32_dpp v231, v15, v231 row_newbcast:3 row_mask:0xf bank_mask:0xf// 000000004888: 0BCFCEFA FF01530F
	v_mul_f32_dpp v232, v15, v232 row_newbcast:4 row_mask:0xf bank_mask:0xf// 000000004890: 0BD1D0FA FF01540F
	v_mul_f32_dpp v233, v15, v233 row_newbcast:5 row_mask:0xf bank_mask:0xf// 000000004898: 0BD3D2FA FF01550F
	v_mul_f32_dpp v234, v15, v234 row_newbcast:6 row_mask:0xf bank_mask:0xf// 0000000048A0: 0BD5D4FA FF01560F
	v_mul_f32_dpp v235, v15, v235 row_newbcast:7 row_mask:0xf bank_mask:0xf// 0000000048A8: 0BD7D6FA FF01570F
	v_mul_f32_dpp v236, v15, v236 row_newbcast:4 row_mask:0xf bank_mask:0xf// 0000000048B0: 0BD9D8FA FF01540F
	v_mul_f32_dpp v237, v15, v237 row_newbcast:5 row_mask:0xf bank_mask:0xf// 0000000048B8: 0BDBDAFA FF01550F
	v_mul_f32_dpp v238, v15, v238 row_newbcast:6 row_mask:0xf bank_mask:0xf// 0000000048C0: 0BDDDCFA FF01560F
	v_mul_f32_dpp v239, v15, v239 row_newbcast:7 row_mask:0xf bank_mask:0xf// 0000000048C8: 0BDFDEFA FF01570F
	v_mfma_f32_16x16x32_fp8_fp8 v[68:71], a[128:129], v[208:209], v[68:71]// 0000000048D0: D3F30044 0D13A180
	v_mfma_f32_16x16x32_fp8_fp8 v[68:71], a[130:131], v[210:211], v[68:71]// 0000000048D8: D3F30044 0D13A582
	buffer_load_dwordx4 a[8:11], v36, s[24:27], 0 offen offset:2048// 0000000048E0: E05C1800 80860824
	v_mfma_f32_16x16x32_fp8_fp8 v[68:71], a[132:133], v[212:213], v[68:71]// 0000000048E8: D3F30044 0D13A984
	v_mfma_f32_16x16x32_fp8_fp8 v[68:71], a[134:135], v[214:215], v[68:71]// 0000000048F0: D3F30044 0D13AD86
	v_mfma_f32_16x16x32_fp8_fp8 v[68:71], a[136:137], v[216:217], v[68:71]// 0000000048F8: D3F30044 0D13B188
	v_mfma_f32_16x16x32_fp8_fp8 v[68:71], a[138:139], v[218:219], v[68:71]// 000000004900: D3F30044 0D13B58A
	buffer_load_dwordx4 a[12:15], v36, s[24:27], 0 offen offset:3072// 000000004908: E05C1C00 80860C24
	v_mfma_f32_16x16x32_fp8_fp8 v[68:71], a[140:141], v[220:221], v[68:71]// 000000004910: D3F30044 0D13B98C
	v_mfma_f32_16x16x32_fp8_fp8 v[68:71], a[142:143], v[222:223], v[68:71]// 000000004918: D3F30044 0D13BD8E
	s_waitcnt lgkmcnt(0)                                       // 000000004920: BF8CC07F
	v_and_b32_e32 v243, 0xffff0000, v241                       // 000000004924: 27E7E2FF FFFF0000
	v_lshlrev_b32_e32 v242, 16, v241                           // 00000000492C: 25E5E290
	v_and_b32_e32 v241, 0xffff0000, v240                       // 000000004930: 27E3E0FF FFFF0000
	v_lshlrev_b32_e32 v240, 16, v240                           // 000000004938: 25E1E090
	v_and_b32_e32 v247, 0xffff0000, v245                       // 00000000493C: 27EFEAFF FFFF0000
	v_lshlrev_b32_e32 v246, 16, v245                           // 000000004944: 25EDEA90
	v_and_b32_e32 v245, 0xffff0000, v244                       // 000000004948: 27EBE8FF FFFF0000
	v_lshlrev_b32_e32 v244, 16, v244                           // 000000004950: 25E9E890
	v_and_b32_e32 v251, 0xffff0000, v249                       // 000000004954: 27F7F2FF FFFF0000
	v_lshlrev_b32_e32 v250, 16, v249                           // 00000000495C: 25F5F290
	v_and_b32_e32 v249, 0xffff0000, v248                       // 000000004960: 27F3F0FF FFFF0000
	v_lshlrev_b32_e32 v248, 16, v248                           // 000000004968: 25F1F090
	v_and_b32_e32 v255, 0xffff0000, v253                       // 00000000496C: 27FFFAFF FFFF0000
	v_lshlrev_b32_e32 v254, 16, v253                           // 000000004974: 25FDFA90
	v_and_b32_e32 v253, 0xffff0000, v252                       // 000000004978: 27FBF8FF FFFF0000
	v_lshlrev_b32_e32 v252, 16, v252                           // 000000004980: 25F9F890
	v_mul_f32_dpp v240, v15, v240 row_newbcast:8 row_mask:0xf bank_mask:0xf// 000000004984: 0BE1E0FA FF01580F
	v_mul_f32_dpp v241, v15, v241 row_newbcast:9 row_mask:0xf bank_mask:0xf// 00000000498C: 0BE3E2FA FF01590F
	v_mul_f32_dpp v242, v15, v242 row_newbcast:10 row_mask:0xf bank_mask:0xf// 000000004994: 0BE5E4FA FF015A0F
	v_mul_f32_dpp v243, v15, v243 row_newbcast:11 row_mask:0xf bank_mask:0xf// 00000000499C: 0BE7E6FA FF015B0F
	v_mul_f32_dpp v244, v15, v244 row_newbcast:8 row_mask:0xf bank_mask:0xf// 0000000049A4: 0BE9E8FA FF01580F
	v_mul_f32_dpp v245, v15, v245 row_newbcast:9 row_mask:0xf bank_mask:0xf// 0000000049AC: 0BEBEAFA FF01590F
	v_mul_f32_dpp v246, v15, v246 row_newbcast:10 row_mask:0xf bank_mask:0xf// 0000000049B4: 0BEDECFA FF015A0F
	v_mul_f32_dpp v247, v15, v247 row_newbcast:11 row_mask:0xf bank_mask:0xf// 0000000049BC: 0BEFEEFA FF015B0F
	v_mul_f32_dpp v248, v15, v248 row_newbcast:12 row_mask:0xf bank_mask:0xf// 0000000049C4: 0BF1F0FA FF015C0F
	v_mul_f32_dpp v249, v15, v249 row_newbcast:13 row_mask:0xf bank_mask:0xf// 0000000049CC: 0BF3F2FA FF015D0F
	v_mul_f32_dpp v250, v15, v250 row_newbcast:14 row_mask:0xf bank_mask:0xf// 0000000049D4: 0BF5F4FA FF015E0F
	v_mul_f32_dpp v251, v15, v251 row_newbcast:15 row_mask:0xf bank_mask:0xf// 0000000049DC: 0BF7F6FA FF015F0F
	v_mul_f32_dpp v252, v15, v252 row_newbcast:12 row_mask:0xf bank_mask:0xf// 0000000049E4: 0BF9F8FA FF015C0F
	v_mul_f32_dpp v253, v15, v253 row_newbcast:13 row_mask:0xf bank_mask:0xf// 0000000049EC: 0BFBFAFA FF015D0F
	v_mul_f32_dpp v254, v15, v254 row_newbcast:14 row_mask:0xf bank_mask:0xf// 0000000049F4: 0BFDFCFA FF015E0F
	v_mul_f32_dpp v255, v15, v255 row_newbcast:15 row_mask:0xf bank_mask:0xf// 0000000049FC: 0BFFFEFA FF015F0F
	v_mfma_f32_16x16x32_fp8_fp8 v[72:75], a[144:145], v[192:193], v[72:75]// 000000004A04: D3F30048 0D238190
	v_mfma_f32_16x16x32_fp8_fp8 v[72:75], a[146:147], v[194:195], v[72:75]// 000000004A0C: D3F30048 0D238592
	buffer_load_dwordx4 a[16:19], v37, s[24:27], 0 offen       // 000000004A14: E05C1000 80861025
	v_mfma_f32_16x16x32_fp8_fp8 v[72:75], a[148:149], v[196:197], v[72:75]// 000000004A1C: D3F30048 0D238994
	v_mfma_f32_16x16x32_fp8_fp8 v[72:75], a[150:151], v[198:199], v[72:75]// 000000004A24: D3F30048 0D238D96
	v_mfma_f32_16x16x32_fp8_fp8 v[72:75], a[152:153], v[200:201], v[72:75]// 000000004A2C: D3F30048 0D239198
	v_mfma_f32_16x16x32_fp8_fp8 v[72:75], a[154:155], v[202:203], v[72:75]// 000000004A34: D3F30048 0D23959A
	buffer_load_dwordx4 a[20:23], v37, s[24:27], 0 offen offset:1024// 000000004A3C: E05C1400 80861425
	v_mfma_f32_16x16x32_fp8_fp8 v[72:75], a[156:157], v[204:205], v[72:75]// 000000004A44: D3F30048 0D23999C
	v_mfma_f32_16x16x32_fp8_fp8 v[72:75], a[158:159], v[206:207], v[72:75]// 000000004A4C: D3F30048 0D239D9E
	v_mov_b32_e32 v48, 0x358637bd                              // 000000004A54: 7E6002FF 358637BD
	v_mov_b32_e32 v49, 0x358637bd                              // 000000004A5C: 7E6202FF 358637BD
	v_max3_f32 v48, |v224|, |v225|, v48                        // 000000004A64: D1D30330 04C3C3E0
	v_max3_f32 v48, |v226|, |v227|, v48                        // 000000004A6C: D1D30330 04C3C7E2
	v_max3_f32 v49, |v228|, |v229|, v49                        // 000000004A74: D1D30331 04C7CBE4
	v_max3_f32 v49, |v230|, |v231|, v49                        // 000000004A7C: D1D30331 04C7CFE6
	v_max3_f32 v48, |v232|, |v233|, v48                        // 000000004A84: D1D30330 04C3D3E8
	v_max3_f32 v48, |v234|, |v235|, v48                        // 000000004A8C: D1D30330 04C3D7EA
	v_max3_f32 v49, |v236|, |v237|, v49                        // 000000004A94: D1D30331 04C7DBEC
	v_max3_f32 v49, |v238|, |v239|, v49                        // 000000004A9C: D1D30331 04C7DFEE
	v_max3_f32 v48, |v240|, |v241|, v48                        // 000000004AA4: D1D30330 04C3E3F0
	v_max3_f32 v48, |v242|, |v243|, v48                        // 000000004AAC: D1D30330 04C3E7F2
	v_max3_f32 v49, |v244|, |v245|, v49                        // 000000004AB4: D1D30331 04C7EBF4
	v_max3_f32 v49, |v246|, |v247|, v49                        // 000000004ABC: D1D30331 04C7EFF6
	v_max3_f32 v48, |v248|, |v249|, v48                        // 000000004AC4: D1D30330 04C3F3F8
	v_max3_f32 v48, |v250|, |v251|, v48                        // 000000004ACC: D1D30330 04C3F7FA
	v_max3_f32 v49, |v252|, |v253|, v49                        // 000000004AD4: D1D30331 04C7FBFC
	v_max3_f32 v49, |v254|, |v255|, v49                        // 000000004ADC: D1D30331 04C7FFFE
	v_mfma_f32_16x16x32_fp8_fp8 v[76:79], a[144:145], v[208:209], v[76:79]// 000000004AE4: D3F3004C 0D33A190
	ds_write_b64 v3, v[48:49]                                  // 000000004AEC: D89A0000 00003003
	v_mfma_f32_16x16x32_fp8_fp8 v[76:79], a[146:147], v[210:211], v[76:79]// 000000004AF4: D3F3004C 0D33A592
	buffer_load_dwordx4 a[24:27], v37, s[24:27], 0 offen offset:2048// 000000004AFC: E05C1800 80861825
	v_mfma_f32_16x16x32_fp8_fp8 v[76:79], a[148:149], v[212:213], v[76:79]// 000000004B04: D3F3004C 0D33A994
	v_mfma_f32_16x16x32_fp8_fp8 v[76:79], a[150:151], v[214:215], v[76:79]// 000000004B0C: D3F3004C 0D33AD96
	v_mfma_f32_16x16x32_fp8_fp8 v[76:79], a[152:153], v[216:217], v[76:79]// 000000004B14: D3F3004C 0D33B198
	v_mfma_f32_16x16x32_fp8_fp8 v[76:79], a[154:155], v[218:219], v[76:79]// 000000004B1C: D3F3004C 0D33B59A
	buffer_load_dwordx4 a[28:31], v37, s[24:27], 0 offen offset:3072// 000000004B24: E05C1C00 80861C25
	v_mfma_f32_16x16x32_fp8_fp8 v[76:79], a[156:157], v[220:221], v[76:79]// 000000004B2C: D3F3004C 0D33B99C
	v_mfma_f32_16x16x32_fp8_fp8 v[76:79], a[158:159], v[222:223], v[76:79]// 000000004B34: D3F3004C 0D33BD9E
	s_waitcnt lgkmcnt(0)                                       // 000000004B3C: BF8CC07F
	s_barrier                                                  // 000000004B40: BF8A0000
	s_waitcnt vmcnt(28)                                        // 000000004B44: BF8C4F7C
	v_mfma_f32_16x16x32_fp8_fp8 v[80:83], a[160:161], v[192:193], v[80:83]// 000000004B48: D3F30050 0D4381A0
	ds_read_b64 v[48:49], v4                                   // 000000004B50: D8EC0000 30000004
	ds_read_b64 v[50:51], v4 offset:128                        // 000000004B58: D8EC0080 32000004
	v_mfma_f32_16x16x32_fp8_fp8 v[80:83], a[162:163], v[194:195], v[80:83]// 000000004B60: D3F30050 0D4385A2
	buffer_load_dwordx4 a[32:35], v38, s[24:27], 0 offen       // 000000004B68: E05C1000 80862026
	v_mfma_f32_16x16x32_fp8_fp8 v[80:83], a[164:165], v[196:197], v[80:83]// 000000004B70: D3F30050 0D4389A4
	ds_read_b64 v[52:53], v4 offset:256                        // 000000004B78: D8EC0100 34000004
	ds_read_b64 v[54:55], v4 offset:384                        // 000000004B80: D8EC0180 36000004
	v_mfma_f32_16x16x32_fp8_fp8 v[80:83], a[166:167], v[198:199], v[80:83]// 000000004B88: D3F30050 0D438DA6
	v_mfma_f32_16x16x32_fp8_fp8 v[80:83], a[168:169], v[200:201], v[80:83]// 000000004B90: D3F30050 0D4391A8
	ds_read_b64 v[56:57], v4 offset:512                        // 000000004B98: D8EC0200 38000004
	ds_read_b64 v[58:59], v4 offset:640                        // 000000004BA0: D8EC0280 3A000004
	v_mfma_f32_16x16x32_fp8_fp8 v[80:83], a[170:171], v[202:203], v[80:83]// 000000004BA8: D3F30050 0D4395AA
	buffer_load_dwordx4 a[36:39], v38, s[24:27], 0 offen offset:1024// 000000004BB0: E05C1400 80862426
	v_mfma_f32_16x16x32_fp8_fp8 v[80:83], a[172:173], v[204:205], v[80:83]// 000000004BB8: D3F30050 0D4399AC
	ds_read_b64 v[60:61], v4 offset:768                        // 000000004BC0: D8EC0300 3C000004
	ds_read_b64 v[62:63], v4 offset:896                        // 000000004BC8: D8EC0380 3E000004
	v_mfma_f32_16x16x32_fp8_fp8 v[80:83], a[174:175], v[206:207], v[80:83]// 000000004BD0: D3F30050 0D439DAE
	s_waitcnt lgkmcnt(0)                                       // 000000004BD8: BF8CC07F
	v_mov_b32_e32 v22, 0x358637bd                              // 000000004BDC: 7E2C02FF 358637BD
	v_mov_b32_e32 v23, 0x358637bd                              // 000000004BE4: 7E2E02FF 358637BD
	v_max3_f32 v22, |v48|, |v50|, v22                          // 000000004BEC: D1D30316 045A6530
	v_max3_f32 v23, |v49|, |v51|, v23                          // 000000004BF4: D1D30317 045E6731
	v_max3_f32 v22, |v52|, |v54|, v22                          // 000000004BFC: D1D30316 045A6D34
	v_max3_f32 v23, |v53|, |v55|, v23                          // 000000004C04: D1D30317 045E6F35
	v_max3_f32 v22, |v56|, |v58|, v22                          // 000000004C0C: D1D30316 045A7538
	v_max3_f32 v23, |v57|, |v59|, v23                          // 000000004C14: D1D30317 045E7739
	v_max3_f32 v22, |v60|, |v62|, v22                          // 000000004C1C: D1D30316 045A7D3C
	v_max3_f32 v23, |v61|, |v63|, v23                          // 000000004C24: D1D30317 045E7F3D
	v_mfma_f32_16x16x32_fp8_fp8 v[84:87], a[160:161], v[208:209], v[84:87]// 000000004C2C: D3F30054 0D53A1A0
	ds_read_b64 v[48:49], v4 offset:1024                       // 000000004C34: D8EC0400 30000004
	ds_read_b64 v[50:51], v4 offset:1152                       // 000000004C3C: D8EC0480 32000004
	v_mfma_f32_16x16x32_fp8_fp8 v[84:87], a[162:163], v[210:211], v[84:87]// 000000004C44: D3F30054 0D53A5A2
	buffer_load_dwordx4 a[40:43], v38, s[24:27], 0 offen offset:2048// 000000004C4C: E05C1800 80862826
	v_mfma_f32_16x16x32_fp8_fp8 v[84:87], a[164:165], v[212:213], v[84:87]// 000000004C54: D3F30054 0D53A9A4
	ds_read_b64 v[52:53], v4 offset:1280                       // 000000004C5C: D8EC0500 34000004
	ds_read_b64 v[54:55], v4 offset:1408                       // 000000004C64: D8EC0580 36000004
	v_mfma_f32_16x16x32_fp8_fp8 v[84:87], a[166:167], v[214:215], v[84:87]// 000000004C6C: D3F30054 0D53ADA6
	v_mfma_f32_16x16x32_fp8_fp8 v[84:87], a[168:169], v[216:217], v[84:87]// 000000004C74: D3F30054 0D53B1A8
	ds_read_b64 v[56:57], v4 offset:1536                       // 000000004C7C: D8EC0600 38000004
	ds_read_b64 v[58:59], v4 offset:1664                       // 000000004C84: D8EC0680 3A000004
	v_mfma_f32_16x16x32_fp8_fp8 v[84:87], a[170:171], v[218:219], v[84:87]// 000000004C8C: D3F30054 0D53B5AA
	buffer_load_dwordx4 a[44:47], v38, s[24:27], 0 offen offset:3072// 000000004C94: E05C1C00 80862C26
	v_mfma_f32_16x16x32_fp8_fp8 v[84:87], a[172:173], v[220:221], v[84:87]// 000000004C9C: D3F30054 0D53B9AC
	ds_read_b64 v[60:61], v4 offset:1792                       // 000000004CA4: D8EC0700 3C000004
	ds_read_b64 v[62:63], v4 offset:1920                       // 000000004CAC: D8EC0780 3E000004
	v_mfma_f32_16x16x32_fp8_fp8 v[84:87], a[174:175], v[222:223], v[84:87]// 000000004CB4: D3F30054 0D53BDAE
	s_waitcnt vmcnt(28)                                        // 000000004CBC: BF8C4F7C
	v_mfma_f32_16x16x32_fp8_fp8 v[88:91], a[176:177], v[192:193], v[88:91]// 000000004CC0: D3F30058 0D6381B0
	v_mfma_f32_16x16x32_fp8_fp8 v[88:91], a[178:179], v[194:195], v[88:91]// 000000004CC8: D3F30058 0D6385B2
	buffer_load_dwordx4 a[48:51], v39, s[24:27], 0 offen       // 000000004CD0: E05C1000 80863027
	v_mfma_f32_16x16x32_fp8_fp8 v[88:91], a[180:181], v[196:197], v[88:91]// 000000004CD8: D3F30058 0D6389B4
	v_mfma_f32_16x16x32_fp8_fp8 v[88:91], a[182:183], v[198:199], v[88:91]// 000000004CE0: D3F30058 0D638DB6
	v_mfma_f32_16x16x32_fp8_fp8 v[88:91], a[184:185], v[200:201], v[88:91]// 000000004CE8: D3F30058 0D6391B8
	v_mfma_f32_16x16x32_fp8_fp8 v[88:91], a[186:187], v[202:203], v[88:91]// 000000004CF0: D3F30058 0D6395BA
	buffer_load_dwordx4 a[52:55], v39, s[24:27], 0 offen offset:1024// 000000004CF8: E05C1400 80863427
	v_mfma_f32_16x16x32_fp8_fp8 v[88:91], a[188:189], v[204:205], v[88:91]// 000000004D00: D3F30058 0D6399BC
	v_mfma_f32_16x16x32_fp8_fp8 v[88:91], a[190:191], v[206:207], v[88:91]// 000000004D08: D3F30058 0D639DBE
	s_waitcnt lgkmcnt(0)                                       // 000000004D10: BF8CC07F
	v_max3_f32 v22, |v48|, |v50|, v22                          // 000000004D14: D1D30316 045A6530
	v_max3_f32 v23, |v49|, |v51|, v23                          // 000000004D1C: D1D30317 045E6731
	v_max3_f32 v22, |v52|, |v54|, v22                          // 000000004D24: D1D30316 045A6D34
	v_max3_f32 v23, |v53|, |v55|, v23                          // 000000004D2C: D1D30317 045E6F35
	v_max3_f32 v22, |v56|, |v58|, v22                          // 000000004D34: D1D30316 045A7538
	v_max3_f32 v23, |v57|, |v59|, v23                          // 000000004D3C: D1D30317 045E7739
	v_max3_f32 v22, |v60|, |v62|, v22                          // 000000004D44: D1D30316 045A7D3C
	v_max3_f32 v23, |v61|, |v63|, v23                          // 000000004D4C: D1D30317 045E7F3D
	v_mov_b32_e32 v44, 0x43700000                              // 000000004D54: 7E5802FF 43700000
	v_rcp_f32_e32 v22, v22                                     // 000000004D5C: 7E2C4516
	v_rcp_f32_e32 v23, v23                                     // 000000004D60: 7E2E4517
	s_nop 1                                                    // 000000004D64: BF800001
	v_mul_f32_e32 v22, v44, v22                                // 000000004D68: 0A2C2D2C
	v_mul_f32_e32 v23, v44, v23                                // 000000004D6C: 0A2E2F2C
	v_rcp_f32_e32 v26, v22                                     // 000000004D70: 7E344516
	v_rcp_f32_e32 v27, v23                                     // 000000004D74: 7E364517
	v_mov_b32_e32 v44, v22                                     // 000000004D78: 7E580316
	v_mov_b32_e32 v45, v22                                     // 000000004D7C: 7E5A0316
	v_mov_b32_e32 v46, v23                                     // 000000004D80: 7E5C0317
	v_mov_b32_e32 v47, v23                                     // 000000004D84: 7E5E0317
	v_mfma_f32_16x16x32_fp8_fp8 v[92:95], a[176:177], v[208:209], v[92:95]// 000000004D88: D3F3005C 0D73A1B0
	v_mfma_f32_16x16x32_fp8_fp8 v[92:95], a[178:179], v[210:211], v[92:95]// 000000004D90: D3F3005C 0D73A5B2
	buffer_load_dwordx4 a[56:59], v39, s[24:27], 0 offen offset:2048// 000000004D98: E05C1800 80863827
	v_mfma_f32_16x16x32_fp8_fp8 v[92:95], a[180:181], v[212:213], v[92:95]// 000000004DA0: D3F3005C 0D73A9B4
	v_mfma_f32_16x16x32_fp8_fp8 v[92:95], a[182:183], v[214:215], v[92:95]// 000000004DA8: D3F3005C 0D73ADB6
	v_mfma_f32_16x16x32_fp8_fp8 v[92:95], a[184:185], v[216:217], v[92:95]// 000000004DB0: D3F3005C 0D73B1B8
	v_mfma_f32_16x16x32_fp8_fp8 v[92:95], a[186:187], v[218:219], v[92:95]// 000000004DB8: D3F3005C 0D73B5BA
	buffer_load_dwordx4 a[60:63], v39, s[24:27], 0 offen offset:3072// 000000004DC0: E05C1C00 80863C27
	v_mfma_f32_16x16x32_fp8_fp8 v[92:95], a[188:189], v[220:221], v[92:95]// 000000004DC8: D3F3005C 0D73B9BC
	v_mfma_f32_16x16x32_fp8_fp8 v[92:95], a[190:191], v[222:223], v[92:95]// 000000004DD0: D3F3005C 0D73BDBE
	v_pk_mul_f32 v[224:225], v[44:45], v[224:225]              // 000000004DD8: D3B140E0 1803C12C
	v_pk_mul_f32 v[226:227], v[44:45], v[226:227]              // 000000004DE0: D3B140E2 1803C52C
	v_cvt_pk_fp8_f32 v224, v224, v225                          // 000000004DE8: D2A200E0 0003C3E0
	v_cvt_pk_fp8_f32 v224, v226, v227 op_sel:[0,0,1]           // 000000004DF0: D2A240E0 0003C7E2
	v_pk_mul_f32 v[228:229], v[46:47], v[228:229]              // 000000004DF8: D3B140E4 1803C92E
	v_pk_mul_f32 v[230:231], v[46:47], v[230:231]              // 000000004E00: D3B140E6 1803CD2E
	v_cvt_pk_fp8_f32 v225, v228, v229                          // 000000004E08: D2A200E1 0003CBE4
	v_cvt_pk_fp8_f32 v225, v230, v231 op_sel:[0,0,1]           // 000000004E10: D2A240E1 0003CFE6
	s_waitcnt vmcnt(28)                                        // 000000004E18: BF8C4F7C
	v_mfma_f32_16x16x32_fp8_fp8 v[96:99], a[192:193], v[192:193], v[96:99]// 000000004E1C: D3F30060 0D8381C0
	v_mfma_f32_16x16x32_fp8_fp8 v[96:99], a[194:195], v[194:195], v[96:99]// 000000004E24: D3F30060 0D8385C2
	buffer_load_dwordx4 a[64:67], v40, s[24:27], 0 offen       // 000000004E2C: E05C1000 80864028
	v_mfma_f32_16x16x32_fp8_fp8 v[96:99], a[196:197], v[196:197], v[96:99]// 000000004E34: D3F30060 0D8389C4
	v_mfma_f32_16x16x32_fp8_fp8 v[96:99], a[198:199], v[198:199], v[96:99]// 000000004E3C: D3F30060 0D838DC6
	v_mfma_f32_16x16x32_fp8_fp8 v[96:99], a[200:201], v[200:201], v[96:99]// 000000004E44: D3F30060 0D8391C8
	v_mfma_f32_16x16x32_fp8_fp8 v[96:99], a[202:203], v[202:203], v[96:99]// 000000004E4C: D3F30060 0D8395CA
	buffer_load_dwordx4 a[68:71], v40, s[24:27], 0 offen offset:1024// 000000004E54: E05C1400 80864428
	v_mfma_f32_16x16x32_fp8_fp8 v[96:99], a[204:205], v[204:205], v[96:99]// 000000004E5C: D3F30060 0D8399CC
	v_mfma_f32_16x16x32_fp8_fp8 v[96:99], a[206:207], v[206:207], v[96:99]// 000000004E64: D3F30060 0D839DCE
	v_pk_mul_f32 v[232:233], v[44:45], v[232:233]              // 000000004E6C: D3B140E8 1803D12C
	v_pk_mul_f32 v[234:235], v[44:45], v[234:235]              // 000000004E74: D3B140EA 1803D52C
	v_cvt_pk_fp8_f32 v226, v232, v233                          // 000000004E7C: D2A200E2 0003D3E8
	v_cvt_pk_fp8_f32 v226, v234, v235 op_sel:[0,0,1]           // 000000004E84: D2A240E2 0003D7EA
	v_pk_mul_f32 v[236:237], v[46:47], v[236:237]              // 000000004E8C: D3B140EC 1803D92E
	v_pk_mul_f32 v[238:239], v[46:47], v[238:239]              // 000000004E94: D3B140EE 1803DD2E
	v_cvt_pk_fp8_f32 v227, v236, v237                          // 000000004E9C: D2A200E3 0003DBEC
	v_cvt_pk_fp8_f32 v227, v238, v239 op_sel:[0,0,1]           // 000000004EA4: D2A240E3 0003DFEE
	v_mfma_f32_16x16x32_fp8_fp8 v[100:103], a[192:193], v[208:209], v[100:103]// 000000004EAC: D3F30064 0D93A1C0
	ds_write_b32 v12, v224 offset:2048                         // 000000004EB4: D81A0800 0000E00C
	v_mfma_f32_16x16x32_fp8_fp8 v[100:103], a[194:195], v[210:211], v[100:103]// 000000004EBC: D3F30064 0D93A5C2
	buffer_load_dwordx4 a[72:75], v40, s[24:27], 0 offen offset:2048// 000000004EC4: E05C1800 80864828
	v_mfma_f32_16x16x32_fp8_fp8 v[100:103], a[196:197], v[212:213], v[100:103]// 000000004ECC: D3F30064 0D93A9C4
	ds_write_b32 v12, v225 offset:6144                         // 000000004ED4: D81A1800 0000E10C
	v_mfma_f32_16x16x32_fp8_fp8 v[100:103], a[198:199], v[214:215], v[100:103]// 000000004EDC: D3F30064 0D93ADC6
	v_mfma_f32_16x16x32_fp8_fp8 v[100:103], a[200:201], v[216:217], v[100:103]// 000000004EE4: D3F30064 0D93B1C8
	ds_write_b32 v12, v226 offset:3072                         // 000000004EEC: D81A0C00 0000E20C
	v_mfma_f32_16x16x32_fp8_fp8 v[100:103], a[202:203], v[218:219], v[100:103]// 000000004EF4: D3F30064 0D93B5CA
	buffer_load_dwordx4 a[76:79], v40, s[24:27], 0 offen offset:3072// 000000004EFC: E05C1C00 80864C28
	v_mfma_f32_16x16x32_fp8_fp8 v[100:103], a[204:205], v[220:221], v[100:103]// 000000004F04: D3F30064 0D93B9CC
	ds_write_b32 v12, v227 offset:7168                         // 000000004F0C: D81A1C00 0000E30C
	v_mfma_f32_16x16x32_fp8_fp8 v[100:103], a[206:207], v[222:223], v[100:103]// 000000004F14: D3F30064 0D93BDCE
	v_pk_mul_f32 v[240:241], v[44:45], v[240:241]              // 000000004F1C: D3B140F0 1803E12C
	v_pk_mul_f32 v[242:243], v[44:45], v[242:243]              // 000000004F24: D3B140F2 1803E52C
	v_cvt_pk_fp8_f32 v228, v240, v241                          // 000000004F2C: D2A200E4 0003E3F0
	v_cvt_pk_fp8_f32 v228, v242, v243 op_sel:[0,0,1]           // 000000004F34: D2A240E4 0003E7F2
	v_pk_mul_f32 v[244:245], v[46:47], v[244:245]              // 000000004F3C: D3B140F4 1803E92E
	v_pk_mul_f32 v[246:247], v[46:47], v[246:247]              // 000000004F44: D3B140F6 1803ED2E
	v_cvt_pk_fp8_f32 v229, v244, v245                          // 000000004F4C: D2A200E5 0003EBF4
	v_cvt_pk_fp8_f32 v229, v246, v247 op_sel:[0,0,1]           // 000000004F54: D2A240E5 0003EFF6
	s_waitcnt vmcnt(28)                                        // 000000004F5C: BF8C4F7C
	v_mfma_f32_16x16x32_fp8_fp8 v[104:107], a[208:209], v[192:193], v[104:107]// 000000004F60: D3F30068 0DA381D0
	v_mfma_f32_16x16x32_fp8_fp8 v[104:107], a[210:211], v[194:195], v[104:107]// 000000004F68: D3F30068 0DA385D2
	buffer_load_dwordx4 a[80:83], v41, s[24:27], 0 offen       // 000000004F70: E05C1000 80865029
	v_mfma_f32_16x16x32_fp8_fp8 v[104:107], a[212:213], v[196:197], v[104:107]// 000000004F78: D3F30068 0DA389D4
	v_mfma_f32_16x16x32_fp8_fp8 v[104:107], a[214:215], v[198:199], v[104:107]// 000000004F80: D3F30068 0DA38DD6
	v_mfma_f32_16x16x32_fp8_fp8 v[104:107], a[216:217], v[200:201], v[104:107]// 000000004F88: D3F30068 0DA391D8
	v_mfma_f32_16x16x32_fp8_fp8 v[104:107], a[218:219], v[202:203], v[104:107]// 000000004F90: D3F30068 0DA395DA
	buffer_load_dwordx4 a[84:87], v41, s[24:27], 0 offen offset:1024// 000000004F98: E05C1400 80865429
	v_mfma_f32_16x16x32_fp8_fp8 v[104:107], a[220:221], v[204:205], v[104:107]// 000000004FA0: D3F30068 0DA399DC
	v_mfma_f32_16x16x32_fp8_fp8 v[104:107], a[222:223], v[206:207], v[104:107]// 000000004FA8: D3F30068 0DA39DDE
	v_pk_mul_f32 v[248:249], v[44:45], v[248:249]              // 000000004FB0: D3B140F8 1803F12C
	v_pk_mul_f32 v[250:251], v[44:45], v[250:251]              // 000000004FB8: D3B140FA 1803F52C
	v_cvt_pk_fp8_f32 v230, v248, v249                          // 000000004FC0: D2A200E6 0003F3F8
	v_cvt_pk_fp8_f32 v230, v250, v251 op_sel:[0,0,1]           // 000000004FC8: D2A240E6 0003F7FA
	v_pk_mul_f32 v[252:253], v[46:47], v[252:253]              // 000000004FD0: D3B140FC 1803F92E
	v_pk_mul_f32 v[254:255], v[46:47], v[254:255]              // 000000004FD8: D3B140FE 1803FD2E
	v_cvt_pk_fp8_f32 v231, v252, v253                          // 000000004FE0: D2A200E7 0003FBFC
	v_cvt_pk_fp8_f32 v231, v254, v255 op_sel:[0,0,1]           // 000000004FE8: D2A240E7 0003FFFE
	v_mfma_f32_16x16x32_fp8_fp8 v[108:111], a[208:209], v[208:209], v[108:111]// 000000004FF0: D3F3006C 0DB3A1D0
	ds_write_b32 v12, v228 offset:4096                         // 000000004FF8: D81A1000 0000E40C
	v_mfma_f32_16x16x32_fp8_fp8 v[108:111], a[210:211], v[210:211], v[108:111]// 000000005000: D3F3006C 0DB3A5D2
	buffer_load_dwordx4 a[88:91], v41, s[24:27], 0 offen offset:2048// 000000005008: E05C1800 80865829
	v_mfma_f32_16x16x32_fp8_fp8 v[108:111], a[212:213], v[212:213], v[108:111]// 000000005010: D3F3006C 0DB3A9D4
	ds_write_b32 v12, v229 offset:8192                         // 000000005018: D81A2000 0000E50C
	v_mfma_f32_16x16x32_fp8_fp8 v[108:111], a[214:215], v[214:215], v[108:111]// 000000005020: D3F3006C 0DB3ADD6
	v_mfma_f32_16x16x32_fp8_fp8 v[108:111], a[216:217], v[216:217], v[108:111]// 000000005028: D3F3006C 0DB3B1D8
	ds_write_b32 v12, v230 offset:5120                         // 000000005030: D81A1400 0000E60C
	v_mfma_f32_16x16x32_fp8_fp8 v[108:111], a[218:219], v[218:219], v[108:111]// 000000005038: D3F3006C 0DB3B5DA
	buffer_load_dwordx4 a[92:95], v41, s[24:27], 0 offen offset:3072// 000000005040: E05C1C00 80865C29
	v_mfma_f32_16x16x32_fp8_fp8 v[108:111], a[220:221], v[220:221], v[108:111]// 000000005048: D3F3006C 0DB3B9DC
	ds_write_b32 v12, v231 offset:9216                         // 000000005050: D81A2400 0000E70C
	v_mfma_f32_16x16x32_fp8_fp8 v[108:111], a[222:223], v[222:223], v[108:111]// 000000005058: D3F3006C 0DB3BDDE
	s_waitcnt lgkmcnt(0)                                       // 000000005060: BF8CC07F
	s_barrier                                                  // 000000005064: BF8A0000
	s_waitcnt vmcnt(28)                                        // 000000005068: BF8C4F7C
	v_mfma_f32_16x16x32_fp8_fp8 v[112:115], a[224:225], v[192:193], v[112:115]// 00000000506C: D3F30070 0DC381E0
	ds_read_b64 v[224:225], v13 offset:2048                    // 000000005074: D8EC0800 E000000D
	ds_read_b64 v[226:227], v13 offset:2176                    // 00000000507C: D8EC0880 E200000D
	v_mfma_f32_16x16x32_fp8_fp8 v[112:115], a[226:227], v[194:195], v[112:115]// 000000005084: D3F30070 0DC385E2
	buffer_load_dwordx4 a[96:99], v42, s[24:27], 0 offen       // 00000000508C: E05C1000 8086602A
	v_mfma_f32_16x16x32_fp8_fp8 v[112:115], a[228:229], v[196:197], v[112:115]// 000000005094: D3F30070 0DC389E4
	ds_read_b64 v[228:229], v13 offset:3072                    // 00000000509C: D8EC0C00 E400000D
	ds_read_b64 v[230:231], v13 offset:3200                    // 0000000050A4: D8EC0C80 E600000D
	v_mfma_f32_16x16x32_fp8_fp8 v[112:115], a[230:231], v[198:199], v[112:115]// 0000000050AC: D3F30070 0DC38DE6
	v_mfma_f32_16x16x32_fp8_fp8 v[112:115], a[232:233], v[200:201], v[112:115]// 0000000050B4: D3F30070 0DC391E8
	ds_read_b64 v[232:233], v13 offset:4096                    // 0000000050BC: D8EC1000 E800000D
	ds_read_b64 v[234:235], v13 offset:4224                    // 0000000050C4: D8EC1080 EA00000D
	v_mfma_f32_16x16x32_fp8_fp8 v[112:115], a[234:235], v[202:203], v[112:115]// 0000000050CC: D3F30070 0DC395EA
	buffer_load_dwordx4 a[100:103], v42, s[24:27], 0 offen offset:1024// 0000000050D4: E05C1400 8086642A
	v_mfma_f32_16x16x32_fp8_fp8 v[112:115], a[236:237], v[204:205], v[112:115]// 0000000050DC: D3F30070 0DC399EC
	ds_read_b64 v[236:237], v13 offset:5120                    // 0000000050E4: D8EC1400 EC00000D
	ds_read_b64 v[238:239], v13 offset:5248                    // 0000000050EC: D8EC1480 EE00000D
	v_mfma_f32_16x16x32_fp8_fp8 v[112:115], a[238:239], v[206:207], v[112:115]// 0000000050F4: D3F30070 0DC39DEE
	v_mfma_f32_16x16x32_fp8_fp8 v[116:119], a[224:225], v[208:209], v[116:119]// 0000000050FC: D3F30074 0DD3A1E0
	ds_read_b64 v[240:241], v13 offset:6144                    // 000000005104: D8EC1800 F000000D
	ds_read_b64 v[242:243], v13 offset:6272                    // 00000000510C: D8EC1880 F200000D
	v_mfma_f32_16x16x32_fp8_fp8 v[116:119], a[226:227], v[210:211], v[116:119]// 000000005114: D3F30074 0DD3A5E2
	buffer_load_dwordx4 a[104:107], v42, s[24:27], 0 offen offset:2048// 00000000511C: E05C1800 8086682A
	v_mfma_f32_16x16x32_fp8_fp8 v[116:119], a[228:229], v[212:213], v[116:119]// 000000005124: D3F30074 0DD3A9E4
	ds_read_b64 v[244:245], v13 offset:7168                    // 00000000512C: D8EC1C00 F400000D
	ds_read_b64 v[246:247], v13 offset:7296                    // 000000005134: D8EC1C80 F600000D
	v_mfma_f32_16x16x32_fp8_fp8 v[116:119], a[230:231], v[214:215], v[116:119]// 00000000513C: D3F30074 0DD3ADE6
	v_mfma_f32_16x16x32_fp8_fp8 v[116:119], a[232:233], v[216:217], v[116:119]// 000000005144: D3F30074 0DD3B1E8
	ds_read_b64 v[248:249], v13 offset:8192                    // 00000000514C: D8EC2000 F800000D
	ds_read_b64 v[250:251], v13 offset:8320                    // 000000005154: D8EC2080 FA00000D
	v_mfma_f32_16x16x32_fp8_fp8 v[116:119], a[234:235], v[218:219], v[116:119]// 00000000515C: D3F30074 0DD3B5EA
	buffer_load_dwordx4 a[108:111], v42, s[24:27], 0 offen offset:3072// 000000005164: E05C1C00 80866C2A
	v_mfma_f32_16x16x32_fp8_fp8 v[116:119], a[236:237], v[220:221], v[116:119]// 00000000516C: D3F30074 0DD3B9EC
	ds_read_b64 v[252:253], v13 offset:9216                    // 000000005174: D8EC2400 FC00000D
	ds_read_b64 v[254:255], v13 offset:9344                    // 00000000517C: D8EC2480 FE00000D
	v_mfma_f32_16x16x32_fp8_fp8 v[116:119], a[238:239], v[222:223], v[116:119]// 000000005184: D3F30074 0DD3BDEE
	s_waitcnt vmcnt(28)                                        // 00000000518C: BF8C4F7C
	v_mfma_f32_16x16x32_fp8_fp8 v[120:123], a[240:241], v[192:193], v[120:123]// 000000005190: D3F30078 0DE381F0
	v_mfma_f32_16x16x32_fp8_fp8 v[120:123], a[242:243], v[194:195], v[120:123]// 000000005198: D3F30078 0DE385F2
	buffer_load_dwordx4 a[112:115], v43, s[24:27], 0 offen     // 0000000051A0: E05C1000 8086702B
	v_mfma_f32_16x16x32_fp8_fp8 v[120:123], a[244:245], v[196:197], v[120:123]// 0000000051A8: D3F30078 0DE389F4
	v_mfma_f32_16x16x32_fp8_fp8 v[120:123], a[246:247], v[198:199], v[120:123]// 0000000051B0: D3F30078 0DE38DF6
	v_mfma_f32_16x16x32_fp8_fp8 v[120:123], a[248:249], v[200:201], v[120:123]// 0000000051B8: D3F30078 0DE391F8
	v_mfma_f32_16x16x32_fp8_fp8 v[120:123], a[250:251], v[202:203], v[120:123]// 0000000051C0: D3F30078 0DE395FA
	buffer_load_dwordx4 a[116:119], v43, s[24:27], 0 offen offset:1024// 0000000051C8: E05C1400 8086742B
	v_mfma_f32_16x16x32_fp8_fp8 v[120:123], a[252:253], v[204:205], v[120:123]// 0000000051D0: D3F30078 0DE399FC
	v_mfma_f32_16x16x32_fp8_fp8 v[120:123], a[254:255], v[206:207], v[120:123]// 0000000051D8: D3F30078 0DE39DFE
	v_mfma_f32_16x16x32_fp8_fp8 v[124:127], a[240:241], v[208:209], v[124:127]// 0000000051E0: D3F3007C 0DF3A1F0
	v_mfma_f32_16x16x32_fp8_fp8 v[124:127], a[242:243], v[210:211], v[124:127]// 0000000051E8: D3F3007C 0DF3A5F2
	buffer_load_dwordx4 a[120:123], v43, s[24:27], 0 offen offset:2048// 0000000051F0: E05C1800 8086782B
	v_mfma_f32_16x16x32_fp8_fp8 v[124:127], a[244:245], v[212:213], v[124:127]// 0000000051F8: D3F3007C 0DF3A9F4
	v_mfma_f32_16x16x32_fp8_fp8 v[124:127], a[246:247], v[214:215], v[124:127]// 000000005200: D3F3007C 0DF3ADF6
	v_mfma_f32_16x16x32_fp8_fp8 v[124:127], a[248:249], v[216:217], v[124:127]// 000000005208: D3F3007C 0DF3B1F8
	v_mfma_f32_16x16x32_fp8_fp8 v[124:127], a[250:251], v[218:219], v[124:127]// 000000005210: D3F3007C 0DF3B5FA
	buffer_load_dwordx4 a[124:127], v43, s[24:27], 0 offen offset:3072// 000000005218: E05C1C00 80867C2B
	v_mfma_f32_16x16x32_fp8_fp8 v[124:127], a[252:253], v[220:221], v[124:127]// 000000005220: D3F3007C 0DF3B9FC
	v_mfma_f32_16x16x32_fp8_fp8 v[124:127], a[254:255], v[222:223], v[124:127]// 000000005228: D3F3007C 0DF3BDFE
	s_add_u32 s60, 0x200, s80                                  // 000000005230: 803C50FF 00000200
	s_cmp_lt_u32 s60, s81                                      // 000000005238: BF0A513C
	s_cselect_b32 s57, s57, 0                                  // 00000000523C: 85398039
	s_cselect_b32 s91, s91, 0                                  // 000000005240: 855B805B
	s_add_u32 s60, 0x200, s80                                  // 000000005244: 803C50FF 00000200
	s_cmp_lt_u32 s60, s81                                      // 00000000524C: BF0A513C
	s_cselect_b32 s58, s58, 0                                  // 000000005250: 853A803A
	s_add_u32 s20, s57, s20                                    // 000000005254: 80141439
	s_addc_u32 s21, 0, s21                                     // 000000005258: 82151580
	s_add_u32 s28, s91, s28                                    // 00000000525C: 801C1C5B
	s_addc_u32 s29, 0, s29                                     // 000000005260: 821D1D80
	s_add_u32 s24, s58, s24                                    // 000000005264: 8018183A
	s_addc_u32 s25, 0, s25                                     // 000000005268: 82191980
	s_add_u32 s92, s90, s92                                    // 00000000526C: 805C5C5A
	s_addc_u32 s93, 0, s93                                     // 000000005270: 825D5D80
	v_mov_b32_e32 v44, v24                                     // 000000005274: 7E580318
	v_mov_b32_e32 v46, v25                                     // 000000005278: 7E5C0319
	v_mov_b32_e32 v45, v44                                     // 00000000527C: 7E5A032C
	v_mov_b32_e32 v47, v46                                     // 000000005280: 7E5E032E
	v_pk_mul_f32 v[64:65], v[44:45], v[64:65]                  // 000000005284: D3B14040 1802812C
	v_pk_mul_f32 v[66:67], v[44:45], v[66:67]                  // 00000000528C: D3B14042 1802852C
	v_pk_mul_f32 v[68:69], v[46:47], v[68:69]                  // 000000005294: D3B14044 1802892E
	v_pk_mul_f32 v[70:71], v[46:47], v[70:71]                  // 00000000529C: D3B14046 18028D2E
	v_pk_mul_f32 v[72:73], v[44:45], v[72:73]                  // 0000000052A4: D3B14048 1802912C
	v_pk_mul_f32 v[74:75], v[44:45], v[74:75]                  // 0000000052AC: D3B1404A 1802952C
	v_pk_mul_f32 v[76:77], v[46:47], v[76:77]                  // 0000000052B4: D3B1404C 1802992E
	v_pk_mul_f32 v[78:79], v[46:47], v[78:79]                  // 0000000052BC: D3B1404E 18029D2E
	v_pk_mul_f32 v[80:81], v[44:45], v[80:81]                  // 0000000052C4: D3B14050 1802A12C
	v_pk_mul_f32 v[82:83], v[44:45], v[82:83]                  // 0000000052CC: D3B14052 1802A52C
	v_pk_mul_f32 v[84:85], v[46:47], v[84:85]                  // 0000000052D4: D3B14054 1802A92E
	v_pk_mul_f32 v[86:87], v[46:47], v[86:87]                  // 0000000052DC: D3B14056 1802AD2E
	v_pk_mul_f32 v[88:89], v[44:45], v[88:89]                  // 0000000052E4: D3B14058 1802B12C
	v_pk_mul_f32 v[90:91], v[44:45], v[90:91]                  // 0000000052EC: D3B1405A 1802B52C
	v_pk_mul_f32 v[92:93], v[46:47], v[92:93]                  // 0000000052F4: D3B1405C 1802B92E
	v_pk_mul_f32 v[94:95], v[46:47], v[94:95]                  // 0000000052FC: D3B1405E 1802BD2E
	v_pk_mul_f32 v[96:97], v[44:45], v[96:97]                  // 000000005304: D3B14060 1802C12C
	v_pk_mul_f32 v[98:99], v[44:45], v[98:99]                  // 00000000530C: D3B14062 1802C52C
	v_pk_mul_f32 v[100:101], v[46:47], v[100:101]              // 000000005314: D3B14064 1802C92E
	v_pk_mul_f32 v[102:103], v[46:47], v[102:103]              // 00000000531C: D3B14066 1802CD2E
	v_pk_mul_f32 v[104:105], v[44:45], v[104:105]              // 000000005324: D3B14068 1802D12C
	v_pk_mul_f32 v[106:107], v[44:45], v[106:107]              // 00000000532C: D3B1406A 1802D52C
	v_pk_mul_f32 v[108:109], v[46:47], v[108:109]              // 000000005334: D3B1406C 1802D92E
	v_pk_mul_f32 v[110:111], v[46:47], v[110:111]              // 00000000533C: D3B1406E 1802DD2E
	v_pk_mul_f32 v[112:113], v[44:45], v[112:113]              // 000000005344: D3B14070 1802E12C
	v_pk_mul_f32 v[114:115], v[44:45], v[114:115]              // 00000000534C: D3B14072 1802E52C
	v_pk_mul_f32 v[116:117], v[46:47], v[116:117]              // 000000005354: D3B14074 1802E92E
	v_pk_mul_f32 v[118:119], v[46:47], v[118:119]              // 00000000535C: D3B14076 1802ED2E
	v_pk_mul_f32 v[120:121], v[44:45], v[120:121]              // 000000005364: D3B14078 1802F12C
	v_pk_mul_f32 v[122:123], v[44:45], v[122:123]              // 00000000536C: D3B1407A 1802F52C
	v_pk_mul_f32 v[124:125], v[46:47], v[124:125]              // 000000005374: D3B1407C 1802F92E
	v_pk_mul_f32 v[126:127], v[46:47], v[126:127]              // 00000000537C: D3B1407E 1802FD2E
	s_addk_i32 s80, 0x100                                      // 000000005384: B7500100
	s_cmp_lt_i32 s80, s81                                      // 000000005388: BF045150
	s_cbranch_scc0 label_0EB9                                  // 00000000538C: BF840555
	v_rcp_f32_e32 v44, v26                                     // 000000005390: 7E58451A
	v_rcp_f32_e32 v46, v27                                     // 000000005394: 7E5C451B
	v_mov_b32_e32 v45, v44                                     // 000000005398: 7E5A032C
	v_mov_b32_e32 v47, v46                                     // 00000000539C: 7E5E032E
	v_pk_mul_f32 v[128:129], v[44:45], v[128:129]              // 0000000053A0: D3B14080 1803012C
	v_pk_mul_f32 v[130:131], v[44:45], v[130:131]              // 0000000053A8: D3B14082 1803052C
	v_pk_mul_f32 v[132:133], v[46:47], v[132:133]              // 0000000053B0: D3B14084 1803092E
	v_pk_mul_f32 v[134:135], v[46:47], v[134:135]              // 0000000053B8: D3B14086 18030D2E
	v_pk_mul_f32 v[136:137], v[44:45], v[136:137]              // 0000000053C0: D3B14088 1803112C
	v_pk_mul_f32 v[138:139], v[44:45], v[138:139]              // 0000000053C8: D3B1408A 1803152C
	v_pk_mul_f32 v[140:141], v[46:47], v[140:141]              // 0000000053D0: D3B1408C 1803192E
	v_pk_mul_f32 v[142:143], v[46:47], v[142:143]              // 0000000053D8: D3B1408E 18031D2E
	v_pk_mul_f32 v[144:145], v[44:45], v[144:145]              // 0000000053E0: D3B14090 1803212C
	v_pk_mul_f32 v[146:147], v[44:45], v[146:147]              // 0000000053E8: D3B14092 1803252C
	v_pk_mul_f32 v[148:149], v[46:47], v[148:149]              // 0000000053F0: D3B14094 1803292E
	v_pk_mul_f32 v[150:151], v[46:47], v[150:151]              // 0000000053F8: D3B14096 18032D2E
	v_pk_mul_f32 v[152:153], v[44:45], v[152:153]              // 000000005400: D3B14098 1803312C
	v_pk_mul_f32 v[154:155], v[44:45], v[154:155]              // 000000005408: D3B1409A 1803352C
	v_pk_mul_f32 v[156:157], v[46:47], v[156:157]              // 000000005410: D3B1409C 1803392E
	v_pk_mul_f32 v[158:159], v[46:47], v[158:159]              // 000000005418: D3B1409E 18033D2E
	v_pk_mul_f32 v[160:161], v[44:45], v[160:161]              // 000000005420: D3B140A0 1803412C
	v_pk_mul_f32 v[162:163], v[44:45], v[162:163]              // 000000005428: D3B140A2 1803452C
	v_pk_mul_f32 v[164:165], v[46:47], v[164:165]              // 000000005430: D3B140A4 1803492E
	v_pk_mul_f32 v[166:167], v[46:47], v[166:167]              // 000000005438: D3B140A6 18034D2E
	v_pk_mul_f32 v[168:169], v[44:45], v[168:169]              // 000000005440: D3B140A8 1803512C
	v_pk_mul_f32 v[170:171], v[44:45], v[170:171]              // 000000005448: D3B140AA 1803552C
	v_pk_mul_f32 v[172:173], v[46:47], v[172:173]              // 000000005450: D3B140AC 1803592E
	v_pk_mul_f32 v[174:175], v[46:47], v[174:175]              // 000000005458: D3B140AE 18035D2E
	v_pk_mul_f32 v[176:177], v[44:45], v[176:177]              // 000000005460: D3B140B0 1803612C
	v_pk_mul_f32 v[178:179], v[44:45], v[178:179]              // 000000005468: D3B140B2 1803652C
	v_pk_mul_f32 v[180:181], v[46:47], v[180:181]              // 000000005470: D3B140B4 1803692E
	v_pk_mul_f32 v[182:183], v[46:47], v[182:183]              // 000000005478: D3B140B6 18036D2E
	v_pk_mul_f32 v[184:185], v[44:45], v[184:185]              // 000000005480: D3B140B8 1803712C
	v_pk_mul_f32 v[186:187], v[44:45], v[186:187]              // 000000005488: D3B140BA 1803752C
	v_pk_mul_f32 v[188:189], v[46:47], v[188:189]              // 000000005490: D3B140BC 1803792E
	v_pk_mul_f32 v[190:191], v[46:47], v[190:191]              // 000000005498: D3B140BE 18037D2E
	s_waitcnt vmcnt(24) lgkmcnt(0)                             // 0000000054A0: BF8C4078
	s_barrier                                                  // 0000000054A4: BF8A0000
	v_mfma_f32_16x16x32_fp8_fp8 v[128:131], a[0:1], v[224:225], v[128:131]// 0000000054A8: D3F30080 0E03C100
	v_mfma_f32_16x16x32_fp8_fp8 v[128:131], a[2:3], v[226:227], v[128:131]// 0000000054B0: D3F30080 0E03C502
	buffer_load_dwordx4 a[128:131], v36, s[92:95], 0 offen     // 0000000054B8: E05C1000 80978024
	v_mfma_f32_16x16x32_fp8_fp8 v[128:131], a[4:5], v[228:229], v[128:131]// 0000000054C0: D3F30080 0E03C904
	v_mfma_f32_16x16x32_fp8_fp8 v[128:131], a[6:7], v[230:231], v[128:131]// 0000000054C8: D3F30080 0E03CD06
	buffer_load_dword v28, s[20:23], 0 offen lds               // 0000000054D0: E0511000 8005001C
	buffer_load_dword v28, s[20:23], 0 offen offset:256 lds    // 0000000054D8: E0511100 8005001C
	s_add_u32 m0, 0x820, s50                                   // 0000000054E0: 807C32FF 00000820
	v_mfma_f32_16x16x32_fp8_fp8 v[128:131], a[8:9], v[232:233], v[128:131]// 0000000054E8: D3F30080 0E03D108
	v_mfma_f32_16x16x32_fp8_fp8 v[128:131], a[10:11], v[234:235], v[128:131]// 0000000054F0: D3F30080 0E03D50A
	buffer_load_dwordx4 a[132:135], v36, s[92:95], 0 offen offset:1024// 0000000054F8: E05C1400 80978424
	v_mfma_f32_16x16x32_fp8_fp8 v[128:131], a[12:13], v[236:237], v[128:131]// 000000005500: D3F30080 0E03D90C
	v_mfma_f32_16x16x32_fp8_fp8 v[128:131], a[14:15], v[238:239], v[128:131]// 000000005508: D3F30080 0E03DD0E
	buffer_load_dword v29, s[20:23], 0 offen lds               // 000000005510: E0511000 8005001D
	buffer_load_dword v29, s[20:23], 0 offen offset:256 lds    // 000000005518: E0511100 8005001D
	s_add_u32 m0, 0x1040, s50                                  // 000000005520: 807C32FF 00001040
	v_mfma_f32_16x16x32_fp8_fp8 v[132:135], a[0:1], v[240:241], v[132:135]// 000000005528: D3F30084 0E13E100
	v_mfma_f32_16x16x32_fp8_fp8 v[132:135], a[2:3], v[242:243], v[132:135]// 000000005530: D3F30084 0E13E502
	buffer_load_dwordx4 a[136:139], v36, s[92:95], 0 offen offset:2048// 000000005538: E05C1800 80978824
	v_mfma_f32_16x16x32_fp8_fp8 v[132:135], a[4:5], v[244:245], v[132:135]// 000000005540: D3F30084 0E13E904
	v_mfma_f32_16x16x32_fp8_fp8 v[132:135], a[6:7], v[246:247], v[132:135]// 000000005548: D3F30084 0E13ED06
	buffer_load_dword v30, s[20:23], 0 offen lds               // 000000005550: E0511000 8005001E
	buffer_load_dword v30, s[20:23], 0 offen offset:256 lds    // 000000005558: E0511100 8005001E
	s_add_u32 m0, 0x1860, s50                                  // 000000005560: 807C32FF 00001860
	v_mfma_f32_16x16x32_fp8_fp8 v[132:135], a[8:9], v[248:249], v[132:135]// 000000005568: D3F30084 0E13F108
	v_mfma_f32_16x16x32_fp8_fp8 v[132:135], a[10:11], v[250:251], v[132:135]// 000000005570: D3F30084 0E13F50A
	buffer_load_dwordx4 a[140:143], v36, s[92:95], 0 offen offset:3072// 000000005578: E05C1C00 80978C24
	v_mfma_f32_16x16x32_fp8_fp8 v[132:135], a[12:13], v[252:253], v[132:135]// 000000005580: D3F30084 0E13F90C
	v_mfma_f32_16x16x32_fp8_fp8 v[132:135], a[14:15], v[254:255], v[132:135]// 000000005588: D3F30084 0E13FD0E
	buffer_load_dword v31, s[20:23], 0 offen lds               // 000000005590: E0511000 8005001F
	buffer_load_dword v31, s[20:23], 0 offen offset:256 lds    // 000000005598: E0511100 8005001F
	s_add_u32 m0, 0x2080, s50                                  // 0000000055A0: 807C32FF 00002080
	v_mfma_f32_16x16x32_fp8_fp8 v[136:139], a[16:17], v[224:225], v[136:139]// 0000000055A8: D3F30088 0E23C110
	v_mfma_f32_16x16x32_fp8_fp8 v[136:139], a[18:19], v[226:227], v[136:139]// 0000000055B0: D3F30088 0E23C512
	buffer_load_dwordx4 a[144:147], v37, s[92:95], 0 offen     // 0000000055B8: E05C1000 80979025
	v_mfma_f32_16x16x32_fp8_fp8 v[136:139], a[20:21], v[228:229], v[136:139]// 0000000055C0: D3F30088 0E23C914
	v_mfma_f32_16x16x32_fp8_fp8 v[136:139], a[22:23], v[230:231], v[136:139]// 0000000055C8: D3F30088 0E23CD16
	buffer_load_dword v32, s[20:23], 0 offen lds               // 0000000055D0: E0511000 80050020
	buffer_load_dword v32, s[20:23], 0 offen offset:256 lds    // 0000000055D8: E0511100 80050020
	s_add_u32 m0, 0x28a0, s50                                  // 0000000055E0: 807C32FF 000028A0
	v_mfma_f32_16x16x32_fp8_fp8 v[136:139], a[24:25], v[232:233], v[136:139]// 0000000055E8: D3F30088 0E23D118
	v_mfma_f32_16x16x32_fp8_fp8 v[136:139], a[26:27], v[234:235], v[136:139]// 0000000055F0: D3F30088 0E23D51A
	buffer_load_dwordx4 a[148:151], v37, s[92:95], 0 offen offset:1024// 0000000055F8: E05C1400 80979425
	v_mfma_f32_16x16x32_fp8_fp8 v[136:139], a[28:29], v[236:237], v[136:139]// 000000005600: D3F30088 0E23D91C
	v_mfma_f32_16x16x32_fp8_fp8 v[136:139], a[30:31], v[238:239], v[136:139]// 000000005608: D3F30088 0E23DD1E
	buffer_load_dword v33, s[20:23], 0 offen lds               // 000000005610: E0511000 80050021
	buffer_load_dword v33, s[20:23], 0 offen offset:256 lds    // 000000005618: E0511100 80050021
	s_add_u32 m0, 0x30c0, s50                                  // 000000005620: 807C32FF 000030C0
	v_mfma_f32_16x16x32_fp8_fp8 v[140:143], a[16:17], v[240:241], v[140:143]// 000000005628: D3F3008C 0E33E110
	v_mfma_f32_16x16x32_fp8_fp8 v[140:143], a[18:19], v[242:243], v[140:143]// 000000005630: D3F3008C 0E33E512
	buffer_load_dwordx4 a[152:155], v37, s[92:95], 0 offen offset:2048// 000000005638: E05C1800 80979825
	v_mfma_f32_16x16x32_fp8_fp8 v[140:143], a[20:21], v[244:245], v[140:143]// 000000005640: D3F3008C 0E33E914
	v_mfma_f32_16x16x32_fp8_fp8 v[140:143], a[22:23], v[246:247], v[140:143]// 000000005648: D3F3008C 0E33ED16
	buffer_load_dword v34, s[20:23], 0 offen lds               // 000000005650: E0511000 80050022
	buffer_load_dword v34, s[20:23], 0 offen offset:256 lds    // 000000005658: E0511100 80050022
	s_add_u32 m0, 0x38e0, s50                                  // 000000005660: 807C32FF 000038E0
	v_mfma_f32_16x16x32_fp8_fp8 v[140:143], a[24:25], v[248:249], v[140:143]// 000000005668: D3F3008C 0E33F118
	v_mfma_f32_16x16x32_fp8_fp8 v[140:143], a[26:27], v[250:251], v[140:143]// 000000005670: D3F3008C 0E33F51A
	buffer_load_dwordx4 a[156:159], v37, s[92:95], 0 offen offset:3072// 000000005678: E05C1C00 80979C25
	v_mfma_f32_16x16x32_fp8_fp8 v[140:143], a[28:29], v[252:253], v[140:143]// 000000005680: D3F3008C 0E33F91C
	v_mfma_f32_16x16x32_fp8_fp8 v[140:143], a[30:31], v[254:255], v[140:143]// 000000005688: D3F3008C 0E33FD1E
	buffer_load_dword v35, s[20:23], 0 offen lds               // 000000005690: E0511000 80050023
	buffer_load_dword v35, s[20:23], 0 offen offset:256 lds    // 000000005698: E0511100 80050023
	s_add_u32 m0, 0, s51                                       // 0000000056A0: 807C3380
	buffer_load_dword v14, v6, s[28:31], 0 offen               // 0000000056A4: E0501000 80070E06
	s_waitcnt vmcnt(45)                                        // 0000000056AC: BF8C8F7D
	v_mfma_f32_16x16x32_fp8_fp8 v[144:147], a[32:33], v[224:225], v[144:147]// 0000000056B0: D3F30090 0E43C120
	v_mfma_f32_16x16x32_fp8_fp8 v[144:147], a[34:35], v[226:227], v[144:147]// 0000000056B8: D3F30090 0E43C522
	buffer_load_dwordx4 a[160:163], v38, s[92:95], 0 offen     // 0000000056C0: E05C1000 8097A026
	v_mfma_f32_16x16x32_fp8_fp8 v[144:147], a[36:37], v[228:229], v[144:147]// 0000000056C8: D3F30090 0E43C924
	v_mfma_f32_16x16x32_fp8_fp8 v[144:147], a[38:39], v[230:231], v[144:147]// 0000000056D0: D3F30090 0E43CD26
	v_mfma_f32_16x16x32_fp8_fp8 v[144:147], a[40:41], v[232:233], v[144:147]// 0000000056D8: D3F30090 0E43D128
	v_mfma_f32_16x16x32_fp8_fp8 v[144:147], a[42:43], v[234:235], v[144:147]// 0000000056E0: D3F30090 0E43D52A
	buffer_load_dwordx4 a[164:167], v38, s[92:95], 0 offen offset:1024// 0000000056E8: E05C1400 8097A426
	v_mfma_f32_16x16x32_fp8_fp8 v[144:147], a[44:45], v[236:237], v[144:147]// 0000000056F0: D3F30090 0E43D92C
	v_mfma_f32_16x16x32_fp8_fp8 v[144:147], a[46:47], v[238:239], v[144:147]// 0000000056F8: D3F30090 0E43DD2E
	v_mfma_f32_16x16x32_fp8_fp8 v[148:151], a[32:33], v[240:241], v[148:151]// 000000005700: D3F30094 0E53E120
	v_mfma_f32_16x16x32_fp8_fp8 v[148:151], a[34:35], v[242:243], v[148:151]// 000000005708: D3F30094 0E53E522
	buffer_load_dwordx4 a[168:171], v38, s[92:95], 0 offen offset:2048// 000000005710: E05C1800 8097A826
	v_mfma_f32_16x16x32_fp8_fp8 v[148:151], a[36:37], v[244:245], v[148:151]// 000000005718: D3F30094 0E53E924
	v_mfma_f32_16x16x32_fp8_fp8 v[148:151], a[38:39], v[246:247], v[148:151]// 000000005720: D3F30094 0E53ED26
	v_mfma_f32_16x16x32_fp8_fp8 v[148:151], a[40:41], v[248:249], v[148:151]// 000000005728: D3F30094 0E53F128
	v_mfma_f32_16x16x32_fp8_fp8 v[148:151], a[42:43], v[250:251], v[148:151]// 000000005730: D3F30094 0E53F52A
	buffer_load_dwordx4 a[172:175], v38, s[92:95], 0 offen offset:3072// 000000005738: E05C1C00 8097AC26
	v_mfma_f32_16x16x32_fp8_fp8 v[148:151], a[44:45], v[252:253], v[148:151]// 000000005740: D3F30094 0E53F92C
	v_mfma_f32_16x16x32_fp8_fp8 v[148:151], a[46:47], v[254:255], v[148:151]// 000000005748: D3F30094 0E53FD2E
	s_waitcnt vmcnt(45)                                        // 000000005750: BF8C8F7D
	v_mfma_f32_16x16x32_fp8_fp8 v[152:155], a[48:49], v[224:225], v[152:155]// 000000005754: D3F30098 0E63C130
	v_mfma_f32_16x16x32_fp8_fp8 v[152:155], a[50:51], v[226:227], v[152:155]// 00000000575C: D3F30098 0E63C532
	buffer_load_dwordx4 a[176:179], v39, s[92:95], 0 offen     // 000000005764: E05C1000 8097B027
	v_mfma_f32_16x16x32_fp8_fp8 v[152:155], a[52:53], v[228:229], v[152:155]// 00000000576C: D3F30098 0E63C934
	v_mfma_f32_16x16x32_fp8_fp8 v[152:155], a[54:55], v[230:231], v[152:155]// 000000005774: D3F30098 0E63CD36
	v_mfma_f32_16x16x32_fp8_fp8 v[152:155], a[56:57], v[232:233], v[152:155]// 00000000577C: D3F30098 0E63D138
	v_mfma_f32_16x16x32_fp8_fp8 v[152:155], a[58:59], v[234:235], v[152:155]// 000000005784: D3F30098 0E63D53A
	buffer_load_dwordx4 a[180:183], v39, s[92:95], 0 offen offset:1024// 00000000578C: E05C1400 8097B427
	v_mfma_f32_16x16x32_fp8_fp8 v[152:155], a[60:61], v[236:237], v[152:155]// 000000005794: D3F30098 0E63D93C
	v_mfma_f32_16x16x32_fp8_fp8 v[152:155], a[62:63], v[238:239], v[152:155]// 00000000579C: D3F30098 0E63DD3E
	v_mfma_f32_16x16x32_fp8_fp8 v[156:159], a[48:49], v[240:241], v[156:159]// 0000000057A4: D3F3009C 0E73E130
	v_mfma_f32_16x16x32_fp8_fp8 v[156:159], a[50:51], v[242:243], v[156:159]// 0000000057AC: D3F3009C 0E73E532
	buffer_load_dwordx4 a[184:187], v39, s[92:95], 0 offen offset:2048// 0000000057B4: E05C1800 8097B827
	v_mfma_f32_16x16x32_fp8_fp8 v[156:159], a[52:53], v[244:245], v[156:159]// 0000000057BC: D3F3009C 0E73E934
	v_mfma_f32_16x16x32_fp8_fp8 v[156:159], a[54:55], v[246:247], v[156:159]// 0000000057C4: D3F3009C 0E73ED36
	v_mfma_f32_16x16x32_fp8_fp8 v[156:159], a[56:57], v[248:249], v[156:159]// 0000000057CC: D3F3009C 0E73F138
	v_mfma_f32_16x16x32_fp8_fp8 v[156:159], a[58:59], v[250:251], v[156:159]// 0000000057D4: D3F3009C 0E73F53A
	buffer_load_dwordx4 a[188:191], v39, s[92:95], 0 offen offset:3072// 0000000057DC: E05C1C00 8097BC27
	v_mfma_f32_16x16x32_fp8_fp8 v[156:159], a[60:61], v[252:253], v[156:159]// 0000000057E4: D3F3009C 0E73F93C
	v_mfma_f32_16x16x32_fp8_fp8 v[156:159], a[62:63], v[254:255], v[156:159]// 0000000057EC: D3F3009C 0E73FD3E
	s_waitcnt vmcnt(45)                                        // 0000000057F4: BF8C8F7D
	v_mfma_f32_16x16x32_fp8_fp8 v[160:163], a[64:65], v[224:225], v[160:163]// 0000000057F8: D3F300A0 0E83C140
	v_mfma_f32_16x16x32_fp8_fp8 v[160:163], a[66:67], v[226:227], v[160:163]// 000000005800: D3F300A0 0E83C542
	buffer_load_dwordx4 a[192:195], v40, s[92:95], 0 offen     // 000000005808: E05C1000 8097C028
	v_mfma_f32_16x16x32_fp8_fp8 v[160:163], a[68:69], v[228:229], v[160:163]// 000000005810: D3F300A0 0E83C944
	v_mfma_f32_16x16x32_fp8_fp8 v[160:163], a[70:71], v[230:231], v[160:163]// 000000005818: D3F300A0 0E83CD46
	v_mfma_f32_16x16x32_fp8_fp8 v[160:163], a[72:73], v[232:233], v[160:163]// 000000005820: D3F300A0 0E83D148
	v_mfma_f32_16x16x32_fp8_fp8 v[160:163], a[74:75], v[234:235], v[160:163]// 000000005828: D3F300A0 0E83D54A
	buffer_load_dwordx4 a[196:199], v40, s[92:95], 0 offen offset:1024// 000000005830: E05C1400 8097C428
	v_mfma_f32_16x16x32_fp8_fp8 v[160:163], a[76:77], v[236:237], v[160:163]// 000000005838: D3F300A0 0E83D94C
	v_mfma_f32_16x16x32_fp8_fp8 v[160:163], a[78:79], v[238:239], v[160:163]// 000000005840: D3F300A0 0E83DD4E
	v_mfma_f32_16x16x32_fp8_fp8 v[164:167], a[64:65], v[240:241], v[164:167]// 000000005848: D3F300A4 0E93E140
	v_mfma_f32_16x16x32_fp8_fp8 v[164:167], a[66:67], v[242:243], v[164:167]// 000000005850: D3F300A4 0E93E542
	buffer_load_dwordx4 a[200:203], v40, s[92:95], 0 offen offset:2048// 000000005858: E05C1800 8097C828
	v_mfma_f32_16x16x32_fp8_fp8 v[164:167], a[68:69], v[244:245], v[164:167]// 000000005860: D3F300A4 0E93E944
	v_mfma_f32_16x16x32_fp8_fp8 v[164:167], a[70:71], v[246:247], v[164:167]// 000000005868: D3F300A4 0E93ED46
	v_mfma_f32_16x16x32_fp8_fp8 v[164:167], a[72:73], v[248:249], v[164:167]// 000000005870: D3F300A4 0E93F148
	v_mfma_f32_16x16x32_fp8_fp8 v[164:167], a[74:75], v[250:251], v[164:167]// 000000005878: D3F300A4 0E93F54A
	buffer_load_dwordx4 a[204:207], v40, s[92:95], 0 offen offset:3072// 000000005880: E05C1C00 8097CC28
	v_mfma_f32_16x16x32_fp8_fp8 v[164:167], a[76:77], v[252:253], v[164:167]// 000000005888: D3F300A4 0E93F94C
	v_mfma_f32_16x16x32_fp8_fp8 v[164:167], a[78:79], v[254:255], v[164:167]// 000000005890: D3F300A4 0E93FD4E
	s_waitcnt vmcnt(45)                                        // 000000005898: BF8C8F7D
	v_mfma_f32_16x16x32_fp8_fp8 v[168:171], a[80:81], v[224:225], v[168:171]// 00000000589C: D3F300A8 0EA3C150
	v_mfma_f32_16x16x32_fp8_fp8 v[168:171], a[82:83], v[226:227], v[168:171]// 0000000058A4: D3F300A8 0EA3C552
	buffer_load_dwordx4 a[208:211], v41, s[92:95], 0 offen     // 0000000058AC: E05C1000 8097D029
	v_mfma_f32_16x16x32_fp8_fp8 v[168:171], a[84:85], v[228:229], v[168:171]// 0000000058B4: D3F300A8 0EA3C954
	v_mfma_f32_16x16x32_fp8_fp8 v[168:171], a[86:87], v[230:231], v[168:171]// 0000000058BC: D3F300A8 0EA3CD56
	v_mfma_f32_16x16x32_fp8_fp8 v[168:171], a[88:89], v[232:233], v[168:171]// 0000000058C4: D3F300A8 0EA3D158
	v_mfma_f32_16x16x32_fp8_fp8 v[168:171], a[90:91], v[234:235], v[168:171]// 0000000058CC: D3F300A8 0EA3D55A
	buffer_load_dwordx4 a[212:215], v41, s[92:95], 0 offen offset:1024// 0000000058D4: E05C1400 8097D429
	v_mfma_f32_16x16x32_fp8_fp8 v[168:171], a[92:93], v[236:237], v[168:171]// 0000000058DC: D3F300A8 0EA3D95C
	v_mfma_f32_16x16x32_fp8_fp8 v[168:171], a[94:95], v[238:239], v[168:171]// 0000000058E4: D3F300A8 0EA3DD5E
	v_mfma_f32_16x16x32_fp8_fp8 v[172:175], a[80:81], v[240:241], v[172:175]// 0000000058EC: D3F300AC 0EB3E150
	v_mfma_f32_16x16x32_fp8_fp8 v[172:175], a[82:83], v[242:243], v[172:175]// 0000000058F4: D3F300AC 0EB3E552
	buffer_load_dwordx4 a[216:219], v41, s[92:95], 0 offen offset:2048// 0000000058FC: E05C1800 8097D829
	v_mfma_f32_16x16x32_fp8_fp8 v[172:175], a[84:85], v[244:245], v[172:175]// 000000005904: D3F300AC 0EB3E954
	v_mfma_f32_16x16x32_fp8_fp8 v[172:175], a[86:87], v[246:247], v[172:175]// 00000000590C: D3F300AC 0EB3ED56
	v_mfma_f32_16x16x32_fp8_fp8 v[172:175], a[88:89], v[248:249], v[172:175]// 000000005914: D3F300AC 0EB3F158
	v_mfma_f32_16x16x32_fp8_fp8 v[172:175], a[90:91], v[250:251], v[172:175]// 00000000591C: D3F300AC 0EB3F55A
	buffer_load_dwordx4 a[220:223], v41, s[92:95], 0 offen offset:3072// 000000005924: E05C1C00 8097DC29
	v_mfma_f32_16x16x32_fp8_fp8 v[172:175], a[92:93], v[252:253], v[172:175]// 00000000592C: D3F300AC 0EB3F95C
	v_mfma_f32_16x16x32_fp8_fp8 v[172:175], a[94:95], v[254:255], v[172:175]// 000000005934: D3F300AC 0EB3FD5E
	s_waitcnt vmcnt(45)                                        // 00000000593C: BF8C8F7D
	v_mfma_f32_16x16x32_fp8_fp8 v[176:179], a[96:97], v[224:225], v[176:179]// 000000005940: D3F300B0 0EC3C160
	v_mfma_f32_16x16x32_fp8_fp8 v[176:179], a[98:99], v[226:227], v[176:179]// 000000005948: D3F300B0 0EC3C562
	buffer_load_dwordx4 a[224:227], v42, s[92:95], 0 offen     // 000000005950: E05C1000 8097E02A
	v_mfma_f32_16x16x32_fp8_fp8 v[176:179], a[100:101], v[228:229], v[176:179]// 000000005958: D3F300B0 0EC3C964
	v_mfma_f32_16x16x32_fp8_fp8 v[176:179], a[102:103], v[230:231], v[176:179]// 000000005960: D3F300B0 0EC3CD66
	v_mfma_f32_16x16x32_fp8_fp8 v[176:179], a[104:105], v[232:233], v[176:179]// 000000005968: D3F300B0 0EC3D168
	v_mfma_f32_16x16x32_fp8_fp8 v[176:179], a[106:107], v[234:235], v[176:179]// 000000005970: D3F300B0 0EC3D56A
	buffer_load_dwordx4 a[228:231], v42, s[92:95], 0 offen offset:1024// 000000005978: E05C1400 8097E42A
	v_mfma_f32_16x16x32_fp8_fp8 v[176:179], a[108:109], v[236:237], v[176:179]// 000000005980: D3F300B0 0EC3D96C
	v_mfma_f32_16x16x32_fp8_fp8 v[176:179], a[110:111], v[238:239], v[176:179]// 000000005988: D3F300B0 0EC3DD6E
	v_mfma_f32_16x16x32_fp8_fp8 v[180:183], a[96:97], v[240:241], v[180:183]// 000000005990: D3F300B4 0ED3E160
	v_mfma_f32_16x16x32_fp8_fp8 v[180:183], a[98:99], v[242:243], v[180:183]// 000000005998: D3F300B4 0ED3E562
	buffer_load_dwordx4 a[232:235], v42, s[92:95], 0 offen offset:2048// 0000000059A0: E05C1800 8097E82A
	v_mfma_f32_16x16x32_fp8_fp8 v[180:183], a[100:101], v[244:245], v[180:183]// 0000000059A8: D3F300B4 0ED3E964
	v_mfma_f32_16x16x32_fp8_fp8 v[180:183], a[102:103], v[246:247], v[180:183]// 0000000059B0: D3F300B4 0ED3ED66
	v_mfma_f32_16x16x32_fp8_fp8 v[180:183], a[104:105], v[248:249], v[180:183]// 0000000059B8: D3F300B4 0ED3F168
	v_mfma_f32_16x16x32_fp8_fp8 v[180:183], a[106:107], v[250:251], v[180:183]// 0000000059C0: D3F300B4 0ED3F56A
	buffer_load_dwordx4 a[236:239], v42, s[92:95], 0 offen offset:3072// 0000000059C8: E05C1C00 8097EC2A
	v_mfma_f32_16x16x32_fp8_fp8 v[180:183], a[108:109], v[252:253], v[180:183]// 0000000059D0: D3F300B4 0ED3F96C
	v_mfma_f32_16x16x32_fp8_fp8 v[180:183], a[110:111], v[254:255], v[180:183]// 0000000059D8: D3F300B4 0ED3FD6E
	s_waitcnt vmcnt(45)                                        // 0000000059E0: BF8C8F7D
	v_mfma_f32_16x16x32_fp8_fp8 v[184:187], a[112:113], v[224:225], v[184:187]// 0000000059E4: D3F300B8 0EE3C170
	v_mfma_f32_16x16x32_fp8_fp8 v[184:187], a[114:115], v[226:227], v[184:187]// 0000000059EC: D3F300B8 0EE3C572
	buffer_load_dwordx4 a[240:243], v43, s[92:95], 0 offen     // 0000000059F4: E05C1000 8097F02B
	v_mfma_f32_16x16x32_fp8_fp8 v[184:187], a[116:117], v[228:229], v[184:187]// 0000000059FC: D3F300B8 0EE3C974
	v_mfma_f32_16x16x32_fp8_fp8 v[184:187], a[118:119], v[230:231], v[184:187]// 000000005A04: D3F300B8 0EE3CD76
	v_mfma_f32_16x16x32_fp8_fp8 v[184:187], a[120:121], v[232:233], v[184:187]// 000000005A0C: D3F300B8 0EE3D178
	v_mfma_f32_16x16x32_fp8_fp8 v[184:187], a[122:123], v[234:235], v[184:187]// 000000005A14: D3F300B8 0EE3D57A
	buffer_load_dwordx4 a[244:247], v43, s[92:95], 0 offen offset:1024// 000000005A1C: E05C1400 8097F42B
	v_mfma_f32_16x16x32_fp8_fp8 v[184:187], a[124:125], v[236:237], v[184:187]// 000000005A24: D3F300B8 0EE3D97C
	v_mfma_f32_16x16x32_fp8_fp8 v[184:187], a[126:127], v[238:239], v[184:187]// 000000005A2C: D3F300B8 0EE3DD7E
	v_mfma_f32_16x16x32_fp8_fp8 v[188:191], a[112:113], v[240:241], v[188:191]// 000000005A34: D3F300BC 0EF3E170
	v_mfma_f32_16x16x32_fp8_fp8 v[188:191], a[114:115], v[242:243], v[188:191]// 000000005A3C: D3F300BC 0EF3E572
	buffer_load_dwordx4 a[248:251], v43, s[92:95], 0 offen offset:2048// 000000005A44: E05C1800 8097F82B
	v_mfma_f32_16x16x32_fp8_fp8 v[188:191], a[116:117], v[244:245], v[188:191]// 000000005A4C: D3F300BC 0EF3E974
	v_mfma_f32_16x16x32_fp8_fp8 v[188:191], a[118:119], v[246:247], v[188:191]// 000000005A54: D3F300BC 0EF3ED76
	v_mfma_f32_16x16x32_fp8_fp8 v[188:191], a[120:121], v[248:249], v[188:191]// 000000005A5C: D3F300BC 0EF3F178
	v_mfma_f32_16x16x32_fp8_fp8 v[188:191], a[122:123], v[250:251], v[188:191]// 000000005A64: D3F300BC 0EF3F57A
	buffer_load_dwordx4 a[252:255], v43, s[92:95], 0 offen offset:3072// 000000005A6C: E05C1C00 8097FC2B
	v_mfma_f32_16x16x32_fp8_fp8 v[188:191], a[124:125], v[252:253], v[188:191]// 000000005A74: D3F300BC 0EF3F97C
	v_mfma_f32_16x16x32_fp8_fp8 v[188:191], a[126:127], v[254:255], v[188:191]// 000000005A7C: D3F300BC 0EF3FD7E
	v_mov_b32_e32 v44, v26                                     // 000000005A84: 7E58031A
	v_mov_b32_e32 v46, v27                                     // 000000005A88: 7E5C031B
	v_mov_b32_e32 v45, v44                                     // 000000005A8C: 7E5A032C
	v_mov_b32_e32 v47, v46                                     // 000000005A90: 7E5E032E
	v_pk_mul_f32 v[128:129], v[44:45], v[128:129]              // 000000005A94: D3B14080 1803012C
	v_pk_mul_f32 v[130:131], v[44:45], v[130:131]              // 000000005A9C: D3B14082 1803052C
	v_pk_mul_f32 v[132:133], v[46:47], v[132:133]              // 000000005AA4: D3B14084 1803092E
	v_pk_mul_f32 v[134:135], v[46:47], v[134:135]              // 000000005AAC: D3B14086 18030D2E
	v_pk_mul_f32 v[136:137], v[44:45], v[136:137]              // 000000005AB4: D3B14088 1803112C
	v_pk_mul_f32 v[138:139], v[44:45], v[138:139]              // 000000005ABC: D3B1408A 1803152C
	v_pk_mul_f32 v[140:141], v[46:47], v[140:141]              // 000000005AC4: D3B1408C 1803192E
	v_pk_mul_f32 v[142:143], v[46:47], v[142:143]              // 000000005ACC: D3B1408E 18031D2E
	v_pk_mul_f32 v[144:145], v[44:45], v[144:145]              // 000000005AD4: D3B14090 1803212C
	v_pk_mul_f32 v[146:147], v[44:45], v[146:147]              // 000000005ADC: D3B14092 1803252C
	v_pk_mul_f32 v[148:149], v[46:47], v[148:149]              // 000000005AE4: D3B14094 1803292E
	v_pk_mul_f32 v[150:151], v[46:47], v[150:151]              // 000000005AEC: D3B14096 18032D2E
	v_pk_mul_f32 v[152:153], v[44:45], v[152:153]              // 000000005AF4: D3B14098 1803312C
	v_pk_mul_f32 v[154:155], v[44:45], v[154:155]              // 000000005AFC: D3B1409A 1803352C
	v_pk_mul_f32 v[156:157], v[46:47], v[156:157]              // 000000005B04: D3B1409C 1803392E
	v_pk_mul_f32 v[158:159], v[46:47], v[158:159]              // 000000005B0C: D3B1409E 18033D2E
	v_pk_mul_f32 v[160:161], v[44:45], v[160:161]              // 000000005B14: D3B140A0 1803412C
	v_pk_mul_f32 v[162:163], v[44:45], v[162:163]              // 000000005B1C: D3B140A2 1803452C
	v_pk_mul_f32 v[164:165], v[46:47], v[164:165]              // 000000005B24: D3B140A4 1803492E
	v_pk_mul_f32 v[166:167], v[46:47], v[166:167]              // 000000005B2C: D3B140A6 18034D2E
	v_pk_mul_f32 v[168:169], v[44:45], v[168:169]              // 000000005B34: D3B140A8 1803512C
	v_pk_mul_f32 v[170:171], v[44:45], v[170:171]              // 000000005B3C: D3B140AA 1803552C
	v_pk_mul_f32 v[172:173], v[46:47], v[172:173]              // 000000005B44: D3B140AC 1803592E
	v_pk_mul_f32 v[174:175], v[46:47], v[174:175]              // 000000005B4C: D3B140AE 18035D2E
	v_pk_mul_f32 v[176:177], v[44:45], v[176:177]              // 000000005B54: D3B140B0 1803612C
	v_pk_mul_f32 v[178:179], v[44:45], v[178:179]              // 000000005B5C: D3B140B2 1803652C
	v_pk_mul_f32 v[180:181], v[46:47], v[180:181]              // 000000005B64: D3B140B4 1803692E
	v_pk_mul_f32 v[182:183], v[46:47], v[182:183]              // 000000005B6C: D3B140B6 18036D2E
	v_pk_mul_f32 v[184:185], v[44:45], v[184:185]              // 000000005B74: D3B140B8 1803712C
	v_pk_mul_f32 v[186:187], v[44:45], v[186:187]              // 000000005B7C: D3B140BA 1803752C
	v_pk_mul_f32 v[188:189], v[46:47], v[188:189]              // 000000005B84: D3B140BC 1803792E
	v_pk_mul_f32 v[190:191], v[46:47], v[190:191]              // 000000005B8C: D3B140BE 18037D2E
	v_rcp_f32_e32 v44, v26                                     // 000000005B94: 7E58451A
	v_rcp_f32_e32 v46, v27                                     // 000000005B98: 7E5C451B
	v_mov_b32_e32 v45, v44                                     // 000000005B9C: 7E5A032C
	v_mov_b32_e32 v47, v46                                     // 000000005BA0: 7E5E032E
	v_pk_mul_f32 v[64:65], v[44:45], v[64:65]                  // 000000005BA4: D3B14040 1802812C
	v_pk_mul_f32 v[66:67], v[44:45], v[66:67]                  // 000000005BAC: D3B14042 1802852C
	v_pk_mul_f32 v[68:69], v[46:47], v[68:69]                  // 000000005BB4: D3B14044 1802892E
	v_pk_mul_f32 v[70:71], v[46:47], v[70:71]                  // 000000005BBC: D3B14046 18028D2E
	v_pk_mul_f32 v[72:73], v[44:45], v[72:73]                  // 000000005BC4: D3B14048 1802912C
	v_pk_mul_f32 v[74:75], v[44:45], v[74:75]                  // 000000005BCC: D3B1404A 1802952C
	v_pk_mul_f32 v[76:77], v[46:47], v[76:77]                  // 000000005BD4: D3B1404C 1802992E
	v_pk_mul_f32 v[78:79], v[46:47], v[78:79]                  // 000000005BDC: D3B1404E 18029D2E
	v_pk_mul_f32 v[80:81], v[44:45], v[80:81]                  // 000000005BE4: D3B14050 1802A12C
	v_pk_mul_f32 v[82:83], v[44:45], v[82:83]                  // 000000005BEC: D3B14052 1802A52C
	v_pk_mul_f32 v[84:85], v[46:47], v[84:85]                  // 000000005BF4: D3B14054 1802A92E
	v_pk_mul_f32 v[86:87], v[46:47], v[86:87]                  // 000000005BFC: D3B14056 1802AD2E
	v_pk_mul_f32 v[88:89], v[44:45], v[88:89]                  // 000000005C04: D3B14058 1802B12C
	v_pk_mul_f32 v[90:91], v[44:45], v[90:91]                  // 000000005C0C: D3B1405A 1802B52C
	v_pk_mul_f32 v[92:93], v[46:47], v[92:93]                  // 000000005C14: D3B1405C 1802B92E
	v_pk_mul_f32 v[94:95], v[46:47], v[94:95]                  // 000000005C1C: D3B1405E 1802BD2E
	v_pk_mul_f32 v[96:97], v[44:45], v[96:97]                  // 000000005C24: D3B14060 1802C12C
	v_pk_mul_f32 v[98:99], v[44:45], v[98:99]                  // 000000005C2C: D3B14062 1802C52C
	v_pk_mul_f32 v[100:101], v[46:47], v[100:101]              // 000000005C34: D3B14064 1802C92E
	v_pk_mul_f32 v[102:103], v[46:47], v[102:103]              // 000000005C3C: D3B14066 1802CD2E
	v_pk_mul_f32 v[104:105], v[44:45], v[104:105]              // 000000005C44: D3B14068 1802D12C
	v_pk_mul_f32 v[106:107], v[44:45], v[106:107]              // 000000005C4C: D3B1406A 1802D52C
	v_pk_mul_f32 v[108:109], v[46:47], v[108:109]              // 000000005C54: D3B1406C 1802D92E
	v_pk_mul_f32 v[110:111], v[46:47], v[110:111]              // 000000005C5C: D3B1406E 1802DD2E
	v_pk_mul_f32 v[112:113], v[44:45], v[112:113]              // 000000005C64: D3B14070 1802E12C
	v_pk_mul_f32 v[114:115], v[44:45], v[114:115]              // 000000005C6C: D3B14072 1802E52C
	v_pk_mul_f32 v[116:117], v[46:47], v[116:117]              // 000000005C74: D3B14074 1802E92E
	v_pk_mul_f32 v[118:119], v[46:47], v[118:119]              // 000000005C7C: D3B14076 1802ED2E
	v_pk_mul_f32 v[120:121], v[44:45], v[120:121]              // 000000005C84: D3B14078 1802F12C
	v_pk_mul_f32 v[122:123], v[44:45], v[122:123]              // 000000005C8C: D3B1407A 1802F52C
	v_pk_mul_f32 v[124:125], v[46:47], v[124:125]              // 000000005C94: D3B1407C 1802F92E
	v_pk_mul_f32 v[126:127], v[46:47], v[126:127]              // 000000005C9C: D3B1407E 1802FD2E
	s_waitcnt vmcnt(24)                                        // 000000005CA4: BF8C4F78
	s_barrier                                                  // 000000005CA8: BF8A0000
	v_mfma_f32_16x16x32_fp8_fp8 v[64:67], a[128:129], v[224:225], v[64:67]// 000000005CAC: D3F30040 0D03C180
	ds_read_b64 v[192:193], v2 offset:2048                     // 000000005CB4: D8EC0800 C0000002
	ds_read_b64 v[196:197], v2 offset:10368                    // 000000005CBC: D8EC2880 C4000002
	v_mfma_f32_16x16x32_fp8_fp8 v[64:67], a[130:131], v[226:227], v[64:67]// 000000005CC4: D3F30040 0D03C582
	buffer_load_dwordx4 a[0:3], v36, s[24:27], 0 offen         // 000000005CCC: E05C1000 80860024
	v_mfma_f32_16x16x32_fp8_fp8 v[64:67], a[132:133], v[228:229], v[64:67]// 000000005CD4: D3F30040 0D03C984
	ds_read_b64 v[200:201], v2 offset:2176                     // 000000005CDC: D8EC0880 C8000002
	ds_read_b64 v[204:205], v2 offset:10496                    // 000000005CE4: D8EC2900 CC000002
	v_mfma_f32_16x16x32_fp8_fp8 v[64:67], a[134:135], v[230:231], v[64:67]// 000000005CEC: D3F30040 0D03CD86
	v_mfma_f32_16x16x32_fp8_fp8 v[64:67], a[136:137], v[232:233], v[64:67]// 000000005CF4: D3F30040 0D03D188
	ds_read_b64 v[208:209], v2 offset:2304                     // 000000005CFC: D8EC0900 D0000002
	ds_read_b64 v[212:213], v2 offset:10624                    // 000000005D04: D8EC2980 D4000002
	v_mfma_f32_16x16x32_fp8_fp8 v[64:67], a[138:139], v[234:235], v[64:67]// 000000005D0C: D3F30040 0D03D58A
	buffer_load_dwordx4 a[4:7], v36, s[24:27], 0 offen offset:1024// 000000005D14: E05C1400 80860424
	v_mfma_f32_16x16x32_fp8_fp8 v[64:67], a[140:141], v[236:237], v[64:67]// 000000005D1C: D3F30040 0D03D98C
	ds_read_b64 v[216:217], v2 offset:2432                     // 000000005D24: D8EC0980 D8000002
	ds_read_b64 v[220:221], v2 offset:10752                    // 000000005D2C: D8EC2A00 DC000002
	v_mfma_f32_16x16x32_fp8_fp8 v[64:67], a[142:143], v[238:239], v[64:67]// 000000005D34: D3F30040 0D03DD8E
	s_waitcnt lgkmcnt(4)                                       // 000000005D3C: BF8CC47F
	v_and_b32_e32 v195, 0xffff0000, v193                       // 000000005D40: 278782FF FFFF0000
	v_lshlrev_b32_e32 v194, 16, v193                           // 000000005D48: 25858290
	v_and_b32_e32 v193, 0xffff0000, v192                       // 000000005D4C: 278380FF FFFF0000
	v_lshlrev_b32_e32 v192, 16, v192                           // 000000005D54: 25818090
	v_and_b32_e32 v199, 0xffff0000, v197                       // 000000005D58: 278F8AFF FFFF0000
	v_lshlrev_b32_e32 v198, 16, v197                           // 000000005D60: 258D8A90
	v_and_b32_e32 v197, 0xffff0000, v196                       // 000000005D64: 278B88FF FFFF0000
	v_lshlrev_b32_e32 v196, 16, v196                           // 000000005D6C: 25898890
	v_and_b32_e32 v203, 0xffff0000, v201                       // 000000005D70: 279792FF FFFF0000
	v_lshlrev_b32_e32 v202, 16, v201                           // 000000005D78: 25959290
	v_and_b32_e32 v201, 0xffff0000, v200                       // 000000005D7C: 279390FF FFFF0000
	v_lshlrev_b32_e32 v200, 16, v200                           // 000000005D84: 25919090
	v_and_b32_e32 v207, 0xffff0000, v205                       // 000000005D88: 279F9AFF FFFF0000
	v_lshlrev_b32_e32 v206, 16, v205                           // 000000005D90: 259D9A90
	v_and_b32_e32 v205, 0xffff0000, v204                       // 000000005D94: 279B98FF FFFF0000
	v_lshlrev_b32_e32 v204, 16, v204                           // 000000005D9C: 25999890
	v_mul_f32_dpp v192, v14, v192 row_newbcast:0 row_mask:0xf bank_mask:0xf// 000000005DA0: 0B8180FA FF01500E
	v_mul_f32_dpp v193, v14, v193 row_newbcast:1 row_mask:0xf bank_mask:0xf// 000000005DA8: 0B8382FA FF01510E
	v_mul_f32_dpp v194, v14, v194 row_newbcast:2 row_mask:0xf bank_mask:0xf// 000000005DB0: 0B8584FA FF01520E
	v_mul_f32_dpp v195, v14, v195 row_newbcast:3 row_mask:0xf bank_mask:0xf// 000000005DB8: 0B8786FA FF01530E
	v_mul_f32_dpp v196, v14, v196 row_newbcast:0 row_mask:0xf bank_mask:0xf// 000000005DC0: 0B8988FA FF01500E
	v_mul_f32_dpp v197, v14, v197 row_newbcast:1 row_mask:0xf bank_mask:0xf// 000000005DC8: 0B8B8AFA FF01510E
	v_mul_f32_dpp v198, v14, v198 row_newbcast:2 row_mask:0xf bank_mask:0xf// 000000005DD0: 0B8D8CFA FF01520E
	v_mul_f32_dpp v199, v14, v199 row_newbcast:3 row_mask:0xf bank_mask:0xf// 000000005DD8: 0B8F8EFA FF01530E
	v_mul_f32_dpp v200, v14, v200 row_newbcast:4 row_mask:0xf bank_mask:0xf// 000000005DE0: 0B9190FA FF01540E
	v_mul_f32_dpp v201, v14, v201 row_newbcast:5 row_mask:0xf bank_mask:0xf// 000000005DE8: 0B9392FA FF01550E
	v_mul_f32_dpp v202, v14, v202 row_newbcast:6 row_mask:0xf bank_mask:0xf// 000000005DF0: 0B9594FA FF01560E
	v_mul_f32_dpp v203, v14, v203 row_newbcast:7 row_mask:0xf bank_mask:0xf// 000000005DF8: 0B9796FA FF01570E
	v_mul_f32_dpp v204, v14, v204 row_newbcast:4 row_mask:0xf bank_mask:0xf// 000000005E00: 0B9998FA FF01540E
	v_mul_f32_dpp v205, v14, v205 row_newbcast:5 row_mask:0xf bank_mask:0xf// 000000005E08: 0B9B9AFA FF01550E
	v_mul_f32_dpp v206, v14, v206 row_newbcast:6 row_mask:0xf bank_mask:0xf// 000000005E10: 0B9D9CFA FF01560E
	v_mul_f32_dpp v207, v14, v207 row_newbcast:7 row_mask:0xf bank_mask:0xf// 000000005E18: 0B9F9EFA FF01570E
	v_mfma_f32_16x16x32_fp8_fp8 v[68:71], a[128:129], v[240:241], v[68:71]// 000000005E20: D3F30044 0D13E180
	v_mfma_f32_16x16x32_fp8_fp8 v[68:71], a[130:131], v[242:243], v[68:71]// 000000005E28: D3F30044 0D13E582
	buffer_load_dwordx4 a[8:11], v36, s[24:27], 0 offen offset:2048// 000000005E30: E05C1800 80860824
	v_mfma_f32_16x16x32_fp8_fp8 v[68:71], a[132:133], v[244:245], v[68:71]// 000000005E38: D3F30044 0D13E984
	v_mfma_f32_16x16x32_fp8_fp8 v[68:71], a[134:135], v[246:247], v[68:71]// 000000005E40: D3F30044 0D13ED86
	v_mfma_f32_16x16x32_fp8_fp8 v[68:71], a[136:137], v[248:249], v[68:71]// 000000005E48: D3F30044 0D13F188
	v_mfma_f32_16x16x32_fp8_fp8 v[68:71], a[138:139], v[250:251], v[68:71]// 000000005E50: D3F30044 0D13F58A
	buffer_load_dwordx4 a[12:15], v36, s[24:27], 0 offen offset:3072// 000000005E58: E05C1C00 80860C24
	v_mfma_f32_16x16x32_fp8_fp8 v[68:71], a[140:141], v[252:253], v[68:71]// 000000005E60: D3F30044 0D13F98C
	v_mfma_f32_16x16x32_fp8_fp8 v[68:71], a[142:143], v[254:255], v[68:71]// 000000005E68: D3F30044 0D13FD8E
	s_waitcnt lgkmcnt(0)                                       // 000000005E70: BF8CC07F
	v_and_b32_e32 v211, 0xffff0000, v209                       // 000000005E74: 27A7A2FF FFFF0000
	v_lshlrev_b32_e32 v210, 16, v209                           // 000000005E7C: 25A5A290
	v_and_b32_e32 v209, 0xffff0000, v208                       // 000000005E80: 27A3A0FF FFFF0000
	v_lshlrev_b32_e32 v208, 16, v208                           // 000000005E88: 25A1A090
	v_and_b32_e32 v215, 0xffff0000, v213                       // 000000005E8C: 27AFAAFF FFFF0000
	v_lshlrev_b32_e32 v214, 16, v213                           // 000000005E94: 25ADAA90
	v_and_b32_e32 v213, 0xffff0000, v212                       // 000000005E98: 27ABA8FF FFFF0000
	v_lshlrev_b32_e32 v212, 16, v212                           // 000000005EA0: 25A9A890
	v_and_b32_e32 v219, 0xffff0000, v217                       // 000000005EA4: 27B7B2FF FFFF0000
	v_lshlrev_b32_e32 v218, 16, v217                           // 000000005EAC: 25B5B290
	v_and_b32_e32 v217, 0xffff0000, v216                       // 000000005EB0: 27B3B0FF FFFF0000
	v_lshlrev_b32_e32 v216, 16, v216                           // 000000005EB8: 25B1B090
	v_and_b32_e32 v223, 0xffff0000, v221                       // 000000005EBC: 27BFBAFF FFFF0000
	v_lshlrev_b32_e32 v222, 16, v221                           // 000000005EC4: 25BDBA90
	v_and_b32_e32 v221, 0xffff0000, v220                       // 000000005EC8: 27BBB8FF FFFF0000
	v_lshlrev_b32_e32 v220, 16, v220                           // 000000005ED0: 25B9B890
	v_mul_f32_dpp v208, v14, v208 row_newbcast:8 row_mask:0xf bank_mask:0xf// 000000005ED4: 0BA1A0FA FF01580E
	v_mul_f32_dpp v209, v14, v209 row_newbcast:9 row_mask:0xf bank_mask:0xf// 000000005EDC: 0BA3A2FA FF01590E
	v_mul_f32_dpp v210, v14, v210 row_newbcast:10 row_mask:0xf bank_mask:0xf// 000000005EE4: 0BA5A4FA FF015A0E
	v_mul_f32_dpp v211, v14, v211 row_newbcast:11 row_mask:0xf bank_mask:0xf// 000000005EEC: 0BA7A6FA FF015B0E
	v_mul_f32_dpp v212, v14, v212 row_newbcast:8 row_mask:0xf bank_mask:0xf// 000000005EF4: 0BA9A8FA FF01580E
	v_mul_f32_dpp v213, v14, v213 row_newbcast:9 row_mask:0xf bank_mask:0xf// 000000005EFC: 0BABAAFA FF01590E
	v_mul_f32_dpp v214, v14, v214 row_newbcast:10 row_mask:0xf bank_mask:0xf// 000000005F04: 0BADACFA FF015A0E
	v_mul_f32_dpp v215, v14, v215 row_newbcast:11 row_mask:0xf bank_mask:0xf// 000000005F0C: 0BAFAEFA FF015B0E
	v_mul_f32_dpp v216, v14, v216 row_newbcast:12 row_mask:0xf bank_mask:0xf// 000000005F14: 0BB1B0FA FF015C0E
	v_mul_f32_dpp v217, v14, v217 row_newbcast:13 row_mask:0xf bank_mask:0xf// 000000005F1C: 0BB3B2FA FF015D0E
	v_mul_f32_dpp v218, v14, v218 row_newbcast:14 row_mask:0xf bank_mask:0xf// 000000005F24: 0BB5B4FA FF015E0E
	v_mul_f32_dpp v219, v14, v219 row_newbcast:15 row_mask:0xf bank_mask:0xf// 000000005F2C: 0BB7B6FA FF015F0E
	v_mul_f32_dpp v220, v14, v220 row_newbcast:12 row_mask:0xf bank_mask:0xf// 000000005F34: 0BB9B8FA FF015C0E
	v_mul_f32_dpp v221, v14, v221 row_newbcast:13 row_mask:0xf bank_mask:0xf// 000000005F3C: 0BBBBAFA FF015D0E
	v_mul_f32_dpp v222, v14, v222 row_newbcast:14 row_mask:0xf bank_mask:0xf// 000000005F44: 0BBDBCFA FF015E0E
	v_mul_f32_dpp v223, v14, v223 row_newbcast:15 row_mask:0xf bank_mask:0xf// 000000005F4C: 0BBFBEFA FF015F0E
	v_mfma_f32_16x16x32_fp8_fp8 v[72:75], a[144:145], v[224:225], v[72:75]// 000000005F54: D3F30048 0D23C190
	v_mfma_f32_16x16x32_fp8_fp8 v[72:75], a[146:147], v[226:227], v[72:75]// 000000005F5C: D3F30048 0D23C592
	buffer_load_dwordx4 a[16:19], v37, s[24:27], 0 offen       // 000000005F64: E05C1000 80861025
	v_mfma_f32_16x16x32_fp8_fp8 v[72:75], a[148:149], v[228:229], v[72:75]// 000000005F6C: D3F30048 0D23C994
	v_mfma_f32_16x16x32_fp8_fp8 v[72:75], a[150:151], v[230:231], v[72:75]// 000000005F74: D3F30048 0D23CD96
	v_mfma_f32_16x16x32_fp8_fp8 v[72:75], a[152:153], v[232:233], v[72:75]// 000000005F7C: D3F30048 0D23D198
	v_mfma_f32_16x16x32_fp8_fp8 v[72:75], a[154:155], v[234:235], v[72:75]// 000000005F84: D3F30048 0D23D59A
	buffer_load_dwordx4 a[20:23], v37, s[24:27], 0 offen offset:1024// 000000005F8C: E05C1400 80861425
	v_mfma_f32_16x16x32_fp8_fp8 v[72:75], a[156:157], v[236:237], v[72:75]// 000000005F94: D3F30048 0D23D99C
	v_mfma_f32_16x16x32_fp8_fp8 v[72:75], a[158:159], v[238:239], v[72:75]// 000000005F9C: D3F30048 0D23DD9E
	v_mov_b32_e32 v48, 0x358637bd                              // 000000005FA4: 7E6002FF 358637BD
	v_mov_b32_e32 v49, 0x358637bd                              // 000000005FAC: 7E6202FF 358637BD
	v_max3_f32 v48, |v192|, |v193|, v48                        // 000000005FB4: D1D30330 04C383C0
	v_max3_f32 v48, |v194|, |v195|, v48                        // 000000005FBC: D1D30330 04C387C2
	v_max3_f32 v49, |v196|, |v197|, v49                        // 000000005FC4: D1D30331 04C78BC4
	v_max3_f32 v49, |v198|, |v199|, v49                        // 000000005FCC: D1D30331 04C78FC6
	v_max3_f32 v48, |v200|, |v201|, v48                        // 000000005FD4: D1D30330 04C393C8
	v_max3_f32 v48, |v202|, |v203|, v48                        // 000000005FDC: D1D30330 04C397CA
	v_max3_f32 v49, |v204|, |v205|, v49                        // 000000005FE4: D1D30331 04C79BCC
	v_max3_f32 v49, |v206|, |v207|, v49                        // 000000005FEC: D1D30331 04C79FCE
	v_max3_f32 v48, |v208|, |v209|, v48                        // 000000005FF4: D1D30330 04C3A3D0
	v_max3_f32 v48, |v210|, |v211|, v48                        // 000000005FFC: D1D30330 04C3A7D2
	v_max3_f32 v49, |v212|, |v213|, v49                        // 000000006004: D1D30331 04C7ABD4
	v_max3_f32 v49, |v214|, |v215|, v49                        // 00000000600C: D1D30331 04C7AFD6
	v_max3_f32 v48, |v216|, |v217|, v48                        // 000000006014: D1D30330 04C3B3D8
	v_max3_f32 v48, |v218|, |v219|, v48                        // 00000000601C: D1D30330 04C3B7DA
	v_max3_f32 v49, |v220|, |v221|, v49                        // 000000006024: D1D30331 04C7BBDC
	v_max3_f32 v49, |v222|, |v223|, v49                        // 00000000602C: D1D30331 04C7BFDE
	v_mfma_f32_16x16x32_fp8_fp8 v[76:79], a[144:145], v[240:241], v[76:79]// 000000006034: D3F3004C 0D33E190
	ds_write_b64 v3, v[48:49]                                  // 00000000603C: D89A0000 00003003
	v_mfma_f32_16x16x32_fp8_fp8 v[76:79], a[146:147], v[242:243], v[76:79]// 000000006044: D3F3004C 0D33E592
	buffer_load_dwordx4 a[24:27], v37, s[24:27], 0 offen offset:2048// 00000000604C: E05C1800 80861825
	v_mfma_f32_16x16x32_fp8_fp8 v[76:79], a[148:149], v[244:245], v[76:79]// 000000006054: D3F3004C 0D33E994
	v_mfma_f32_16x16x32_fp8_fp8 v[76:79], a[150:151], v[246:247], v[76:79]// 00000000605C: D3F3004C 0D33ED96
	v_mfma_f32_16x16x32_fp8_fp8 v[76:79], a[152:153], v[248:249], v[76:79]// 000000006064: D3F3004C 0D33F198
	v_mfma_f32_16x16x32_fp8_fp8 v[76:79], a[154:155], v[250:251], v[76:79]// 00000000606C: D3F3004C 0D33F59A
	buffer_load_dwordx4 a[28:31], v37, s[24:27], 0 offen offset:3072// 000000006074: E05C1C00 80861C25
	v_mfma_f32_16x16x32_fp8_fp8 v[76:79], a[156:157], v[252:253], v[76:79]// 00000000607C: D3F3004C 0D33F99C
	v_mfma_f32_16x16x32_fp8_fp8 v[76:79], a[158:159], v[254:255], v[76:79]// 000000006084: D3F3004C 0D33FD9E
	s_waitcnt lgkmcnt(0)                                       // 00000000608C: BF8CC07F
	s_barrier                                                  // 000000006090: BF8A0000
	s_waitcnt vmcnt(28)                                        // 000000006094: BF8C4F7C
	v_mfma_f32_16x16x32_fp8_fp8 v[80:83], a[160:161], v[224:225], v[80:83]// 000000006098: D3F30050 0D43C1A0
	ds_read_b64 v[48:49], v4                                   // 0000000060A0: D8EC0000 30000004
	ds_read_b64 v[50:51], v4 offset:128                        // 0000000060A8: D8EC0080 32000004
	v_mfma_f32_16x16x32_fp8_fp8 v[80:83], a[162:163], v[226:227], v[80:83]// 0000000060B0: D3F30050 0D43C5A2
	buffer_load_dwordx4 a[32:35], v38, s[24:27], 0 offen       // 0000000060B8: E05C1000 80862026
	v_mfma_f32_16x16x32_fp8_fp8 v[80:83], a[164:165], v[228:229], v[80:83]// 0000000060C0: D3F30050 0D43C9A4
	ds_read_b64 v[52:53], v4 offset:256                        // 0000000060C8: D8EC0100 34000004
	ds_read_b64 v[54:55], v4 offset:384                        // 0000000060D0: D8EC0180 36000004
	v_mfma_f32_16x16x32_fp8_fp8 v[80:83], a[166:167], v[230:231], v[80:83]// 0000000060D8: D3F30050 0D43CDA6
	v_mfma_f32_16x16x32_fp8_fp8 v[80:83], a[168:169], v[232:233], v[80:83]// 0000000060E0: D3F30050 0D43D1A8
	ds_read_b64 v[56:57], v4 offset:512                        // 0000000060E8: D8EC0200 38000004
	ds_read_b64 v[58:59], v4 offset:640                        // 0000000060F0: D8EC0280 3A000004
	v_mfma_f32_16x16x32_fp8_fp8 v[80:83], a[170:171], v[234:235], v[80:83]// 0000000060F8: D3F30050 0D43D5AA
	buffer_load_dwordx4 a[36:39], v38, s[24:27], 0 offen offset:1024// 000000006100: E05C1400 80862426
	v_mfma_f32_16x16x32_fp8_fp8 v[80:83], a[172:173], v[236:237], v[80:83]// 000000006108: D3F30050 0D43D9AC
	ds_read_b64 v[60:61], v4 offset:768                        // 000000006110: D8EC0300 3C000004
	ds_read_b64 v[62:63], v4 offset:896                        // 000000006118: D8EC0380 3E000004
	v_mfma_f32_16x16x32_fp8_fp8 v[80:83], a[174:175], v[238:239], v[80:83]// 000000006120: D3F30050 0D43DDAE
	s_waitcnt lgkmcnt(0)                                       // 000000006128: BF8CC07F
	v_mov_b32_e32 v22, 0x358637bd                              // 00000000612C: 7E2C02FF 358637BD
	v_mov_b32_e32 v23, 0x358637bd                              // 000000006134: 7E2E02FF 358637BD
	v_max3_f32 v22, |v48|, |v50|, v22                          // 00000000613C: D1D30316 045A6530
	v_max3_f32 v23, |v49|, |v51|, v23                          // 000000006144: D1D30317 045E6731
	v_max3_f32 v22, |v52|, |v54|, v22                          // 00000000614C: D1D30316 045A6D34
	v_max3_f32 v23, |v53|, |v55|, v23                          // 000000006154: D1D30317 045E6F35
	v_max3_f32 v22, |v56|, |v58|, v22                          // 00000000615C: D1D30316 045A7538
	v_max3_f32 v23, |v57|, |v59|, v23                          // 000000006164: D1D30317 045E7739
	v_max3_f32 v22, |v60|, |v62|, v22                          // 00000000616C: D1D30316 045A7D3C
	v_max3_f32 v23, |v61|, |v63|, v23                          // 000000006174: D1D30317 045E7F3D
	v_mfma_f32_16x16x32_fp8_fp8 v[84:87], a[160:161], v[240:241], v[84:87]// 00000000617C: D3F30054 0D53E1A0
	ds_read_b64 v[48:49], v4 offset:1024                       // 000000006184: D8EC0400 30000004
	ds_read_b64 v[50:51], v4 offset:1152                       // 00000000618C: D8EC0480 32000004
	v_mfma_f32_16x16x32_fp8_fp8 v[84:87], a[162:163], v[242:243], v[84:87]// 000000006194: D3F30054 0D53E5A2
	buffer_load_dwordx4 a[40:43], v38, s[24:27], 0 offen offset:2048// 00000000619C: E05C1800 80862826
	v_mfma_f32_16x16x32_fp8_fp8 v[84:87], a[164:165], v[244:245], v[84:87]// 0000000061A4: D3F30054 0D53E9A4
	ds_read_b64 v[52:53], v4 offset:1280                       // 0000000061AC: D8EC0500 34000004
	ds_read_b64 v[54:55], v4 offset:1408                       // 0000000061B4: D8EC0580 36000004
	v_mfma_f32_16x16x32_fp8_fp8 v[84:87], a[166:167], v[246:247], v[84:87]// 0000000061BC: D3F30054 0D53EDA6
	v_mfma_f32_16x16x32_fp8_fp8 v[84:87], a[168:169], v[248:249], v[84:87]// 0000000061C4: D3F30054 0D53F1A8
	ds_read_b64 v[56:57], v4 offset:1536                       // 0000000061CC: D8EC0600 38000004
	ds_read_b64 v[58:59], v4 offset:1664                       // 0000000061D4: D8EC0680 3A000004
	v_mfma_f32_16x16x32_fp8_fp8 v[84:87], a[170:171], v[250:251], v[84:87]// 0000000061DC: D3F30054 0D53F5AA
	buffer_load_dwordx4 a[44:47], v38, s[24:27], 0 offen offset:3072// 0000000061E4: E05C1C00 80862C26
	v_mfma_f32_16x16x32_fp8_fp8 v[84:87], a[172:173], v[252:253], v[84:87]// 0000000061EC: D3F30054 0D53F9AC
	ds_read_b64 v[60:61], v4 offset:1792                       // 0000000061F4: D8EC0700 3C000004
	ds_read_b64 v[62:63], v4 offset:1920                       // 0000000061FC: D8EC0780 3E000004
	v_mfma_f32_16x16x32_fp8_fp8 v[84:87], a[174:175], v[254:255], v[84:87]// 000000006204: D3F30054 0D53FDAE
	s_waitcnt vmcnt(28)                                        // 00000000620C: BF8C4F7C
	v_mfma_f32_16x16x32_fp8_fp8 v[88:91], a[176:177], v[224:225], v[88:91]// 000000006210: D3F30058 0D63C1B0
	v_mfma_f32_16x16x32_fp8_fp8 v[88:91], a[178:179], v[226:227], v[88:91]// 000000006218: D3F30058 0D63C5B2
	buffer_load_dwordx4 a[48:51], v39, s[24:27], 0 offen       // 000000006220: E05C1000 80863027
	v_mfma_f32_16x16x32_fp8_fp8 v[88:91], a[180:181], v[228:229], v[88:91]// 000000006228: D3F30058 0D63C9B4
	v_mfma_f32_16x16x32_fp8_fp8 v[88:91], a[182:183], v[230:231], v[88:91]// 000000006230: D3F30058 0D63CDB6
	v_mfma_f32_16x16x32_fp8_fp8 v[88:91], a[184:185], v[232:233], v[88:91]// 000000006238: D3F30058 0D63D1B8
	v_mfma_f32_16x16x32_fp8_fp8 v[88:91], a[186:187], v[234:235], v[88:91]// 000000006240: D3F30058 0D63D5BA
	buffer_load_dwordx4 a[52:55], v39, s[24:27], 0 offen offset:1024// 000000006248: E05C1400 80863427
	v_mfma_f32_16x16x32_fp8_fp8 v[88:91], a[188:189], v[236:237], v[88:91]// 000000006250: D3F30058 0D63D9BC
	v_mfma_f32_16x16x32_fp8_fp8 v[88:91], a[190:191], v[238:239], v[88:91]// 000000006258: D3F30058 0D63DDBE
	s_waitcnt lgkmcnt(0)                                       // 000000006260: BF8CC07F
	v_max3_f32 v22, |v48|, |v50|, v22                          // 000000006264: D1D30316 045A6530
	v_max3_f32 v23, |v49|, |v51|, v23                          // 00000000626C: D1D30317 045E6731
	v_max3_f32 v22, |v52|, |v54|, v22                          // 000000006274: D1D30316 045A6D34
	v_max3_f32 v23, |v53|, |v55|, v23                          // 00000000627C: D1D30317 045E6F35
	v_max3_f32 v22, |v56|, |v58|, v22                          // 000000006284: D1D30316 045A7538
	v_max3_f32 v23, |v57|, |v59|, v23                          // 00000000628C: D1D30317 045E7739
	v_max3_f32 v22, |v60|, |v62|, v22                          // 000000006294: D1D30316 045A7D3C
	v_max3_f32 v23, |v61|, |v63|, v23                          // 00000000629C: D1D30317 045E7F3D
	v_mov_b32_e32 v44, 0x43700000                              // 0000000062A4: 7E5802FF 43700000
	v_rcp_f32_e32 v22, v22                                     // 0000000062AC: 7E2C4516
	v_rcp_f32_e32 v23, v23                                     // 0000000062B0: 7E2E4517
	s_nop 1                                                    // 0000000062B4: BF800001
	v_mul_f32_e32 v22, v44, v22                                // 0000000062B8: 0A2C2D2C
	v_mul_f32_e32 v23, v44, v23                                // 0000000062BC: 0A2E2F2C
	v_rcp_f32_e32 v24, v22                                     // 0000000062C0: 7E304516
	v_rcp_f32_e32 v25, v23                                     // 0000000062C4: 7E324517
	v_mov_b32_e32 v44, v22                                     // 0000000062C8: 7E580316
	v_mov_b32_e32 v45, v22                                     // 0000000062CC: 7E5A0316
	v_mov_b32_e32 v46, v23                                     // 0000000062D0: 7E5C0317
	v_mov_b32_e32 v47, v23                                     // 0000000062D4: 7E5E0317
	v_mfma_f32_16x16x32_fp8_fp8 v[92:95], a[176:177], v[240:241], v[92:95]// 0000000062D8: D3F3005C 0D73E1B0
	v_mfma_f32_16x16x32_fp8_fp8 v[92:95], a[178:179], v[242:243], v[92:95]// 0000000062E0: D3F3005C 0D73E5B2
	buffer_load_dwordx4 a[56:59], v39, s[24:27], 0 offen offset:2048// 0000000062E8: E05C1800 80863827
	v_mfma_f32_16x16x32_fp8_fp8 v[92:95], a[180:181], v[244:245], v[92:95]// 0000000062F0: D3F3005C 0D73E9B4
	v_mfma_f32_16x16x32_fp8_fp8 v[92:95], a[182:183], v[246:247], v[92:95]// 0000000062F8: D3F3005C 0D73EDB6
	v_mfma_f32_16x16x32_fp8_fp8 v[92:95], a[184:185], v[248:249], v[92:95]// 000000006300: D3F3005C 0D73F1B8
	v_mfma_f32_16x16x32_fp8_fp8 v[92:95], a[186:187], v[250:251], v[92:95]// 000000006308: D3F3005C 0D73F5BA
	buffer_load_dwordx4 a[60:63], v39, s[24:27], 0 offen offset:3072// 000000006310: E05C1C00 80863C27
	v_mfma_f32_16x16x32_fp8_fp8 v[92:95], a[188:189], v[252:253], v[92:95]// 000000006318: D3F3005C 0D73F9BC
	v_mfma_f32_16x16x32_fp8_fp8 v[92:95], a[190:191], v[254:255], v[92:95]// 000000006320: D3F3005C 0D73FDBE
	v_pk_mul_f32 v[192:193], v[44:45], v[192:193]              // 000000006328: D3B140C0 1803812C
	v_pk_mul_f32 v[194:195], v[44:45], v[194:195]              // 000000006330: D3B140C2 1803852C
	v_cvt_pk_fp8_f32 v192, v192, v193                          // 000000006338: D2A200C0 000383C0
	v_cvt_pk_fp8_f32 v192, v194, v195 op_sel:[0,0,1]           // 000000006340: D2A240C0 000387C2
	v_pk_mul_f32 v[196:197], v[46:47], v[196:197]              // 000000006348: D3B140C4 1803892E
	v_pk_mul_f32 v[198:199], v[46:47], v[198:199]              // 000000006350: D3B140C6 18038D2E
	v_cvt_pk_fp8_f32 v193, v196, v197                          // 000000006358: D2A200C1 00038BC4
	v_cvt_pk_fp8_f32 v193, v198, v199 op_sel:[0,0,1]           // 000000006360: D2A240C1 00038FC6
	s_waitcnt vmcnt(28)                                        // 000000006368: BF8C4F7C
	v_mfma_f32_16x16x32_fp8_fp8 v[96:99], a[192:193], v[224:225], v[96:99]// 00000000636C: D3F30060 0D83C1C0
	v_mfma_f32_16x16x32_fp8_fp8 v[96:99], a[194:195], v[226:227], v[96:99]// 000000006374: D3F30060 0D83C5C2
	buffer_load_dwordx4 a[64:67], v40, s[24:27], 0 offen       // 00000000637C: E05C1000 80864028
	v_mfma_f32_16x16x32_fp8_fp8 v[96:99], a[196:197], v[228:229], v[96:99]// 000000006384: D3F30060 0D83C9C4
	v_mfma_f32_16x16x32_fp8_fp8 v[96:99], a[198:199], v[230:231], v[96:99]// 00000000638C: D3F30060 0D83CDC6
	v_mfma_f32_16x16x32_fp8_fp8 v[96:99], a[200:201], v[232:233], v[96:99]// 000000006394: D3F30060 0D83D1C8
	v_mfma_f32_16x16x32_fp8_fp8 v[96:99], a[202:203], v[234:235], v[96:99]// 00000000639C: D3F30060 0D83D5CA
	buffer_load_dwordx4 a[68:71], v40, s[24:27], 0 offen offset:1024// 0000000063A4: E05C1400 80864428
	v_mfma_f32_16x16x32_fp8_fp8 v[96:99], a[204:205], v[236:237], v[96:99]// 0000000063AC: D3F30060 0D83D9CC
	v_mfma_f32_16x16x32_fp8_fp8 v[96:99], a[206:207], v[238:239], v[96:99]// 0000000063B4: D3F30060 0D83DDCE
	v_pk_mul_f32 v[200:201], v[44:45], v[200:201]              // 0000000063BC: D3B140C8 1803912C
	v_pk_mul_f32 v[202:203], v[44:45], v[202:203]              // 0000000063C4: D3B140CA 1803952C
	v_cvt_pk_fp8_f32 v194, v200, v201                          // 0000000063CC: D2A200C2 000393C8
	v_cvt_pk_fp8_f32 v194, v202, v203 op_sel:[0,0,1]           // 0000000063D4: D2A240C2 000397CA
	v_pk_mul_f32 v[204:205], v[46:47], v[204:205]              // 0000000063DC: D3B140CC 1803992E
	v_pk_mul_f32 v[206:207], v[46:47], v[206:207]              // 0000000063E4: D3B140CE 18039D2E
	v_cvt_pk_fp8_f32 v195, v204, v205                          // 0000000063EC: D2A200C3 00039BCC
	v_cvt_pk_fp8_f32 v195, v206, v207 op_sel:[0,0,1]           // 0000000063F4: D2A240C3 00039FCE
	v_mfma_f32_16x16x32_fp8_fp8 v[100:103], a[192:193], v[240:241], v[100:103]// 0000000063FC: D3F30064 0D93E1C0
	ds_write_b32 v12, v192 offset:2048                         // 000000006404: D81A0800 0000C00C
	v_mfma_f32_16x16x32_fp8_fp8 v[100:103], a[194:195], v[242:243], v[100:103]// 00000000640C: D3F30064 0D93E5C2
	buffer_load_dwordx4 a[72:75], v40, s[24:27], 0 offen offset:2048// 000000006414: E05C1800 80864828
	v_mfma_f32_16x16x32_fp8_fp8 v[100:103], a[196:197], v[244:245], v[100:103]// 00000000641C: D3F30064 0D93E9C4
	ds_write_b32 v12, v193 offset:6144                         // 000000006424: D81A1800 0000C10C
	v_mfma_f32_16x16x32_fp8_fp8 v[100:103], a[198:199], v[246:247], v[100:103]// 00000000642C: D3F30064 0D93EDC6
	v_mfma_f32_16x16x32_fp8_fp8 v[100:103], a[200:201], v[248:249], v[100:103]// 000000006434: D3F30064 0D93F1C8
	ds_write_b32 v12, v194 offset:3072                         // 00000000643C: D81A0C00 0000C20C
	v_mfma_f32_16x16x32_fp8_fp8 v[100:103], a[202:203], v[250:251], v[100:103]// 000000006444: D3F30064 0D93F5CA
	buffer_load_dwordx4 a[76:79], v40, s[24:27], 0 offen offset:3072// 00000000644C: E05C1C00 80864C28
	v_mfma_f32_16x16x32_fp8_fp8 v[100:103], a[204:205], v[252:253], v[100:103]// 000000006454: D3F30064 0D93F9CC
	ds_write_b32 v12, v195 offset:7168                         // 00000000645C: D81A1C00 0000C30C
	v_mfma_f32_16x16x32_fp8_fp8 v[100:103], a[206:207], v[254:255], v[100:103]// 000000006464: D3F30064 0D93FDCE
	v_pk_mul_f32 v[208:209], v[44:45], v[208:209]              // 00000000646C: D3B140D0 1803A12C
	v_pk_mul_f32 v[210:211], v[44:45], v[210:211]              // 000000006474: D3B140D2 1803A52C
	v_cvt_pk_fp8_f32 v196, v208, v209                          // 00000000647C: D2A200C4 0003A3D0
	v_cvt_pk_fp8_f32 v196, v210, v211 op_sel:[0,0,1]           // 000000006484: D2A240C4 0003A7D2
	v_pk_mul_f32 v[212:213], v[46:47], v[212:213]              // 00000000648C: D3B140D4 1803A92E
	v_pk_mul_f32 v[214:215], v[46:47], v[214:215]              // 000000006494: D3B140D6 1803AD2E
	v_cvt_pk_fp8_f32 v197, v212, v213                          // 00000000649C: D2A200C5 0003ABD4
	v_cvt_pk_fp8_f32 v197, v214, v215 op_sel:[0,0,1]           // 0000000064A4: D2A240C5 0003AFD6
	s_waitcnt vmcnt(28)                                        // 0000000064AC: BF8C4F7C
	v_mfma_f32_16x16x32_fp8_fp8 v[104:107], a[208:209], v[224:225], v[104:107]// 0000000064B0: D3F30068 0DA3C1D0
	v_mfma_f32_16x16x32_fp8_fp8 v[104:107], a[210:211], v[226:227], v[104:107]// 0000000064B8: D3F30068 0DA3C5D2
	buffer_load_dwordx4 a[80:83], v41, s[24:27], 0 offen       // 0000000064C0: E05C1000 80865029
	v_mfma_f32_16x16x32_fp8_fp8 v[104:107], a[212:213], v[228:229], v[104:107]// 0000000064C8: D3F30068 0DA3C9D4
	v_mfma_f32_16x16x32_fp8_fp8 v[104:107], a[214:215], v[230:231], v[104:107]// 0000000064D0: D3F30068 0DA3CDD6
	v_mfma_f32_16x16x32_fp8_fp8 v[104:107], a[216:217], v[232:233], v[104:107]// 0000000064D8: D3F30068 0DA3D1D8
	v_mfma_f32_16x16x32_fp8_fp8 v[104:107], a[218:219], v[234:235], v[104:107]// 0000000064E0: D3F30068 0DA3D5DA
	buffer_load_dwordx4 a[84:87], v41, s[24:27], 0 offen offset:1024// 0000000064E8: E05C1400 80865429
	v_mfma_f32_16x16x32_fp8_fp8 v[104:107], a[220:221], v[236:237], v[104:107]// 0000000064F0: D3F30068 0DA3D9DC
	v_mfma_f32_16x16x32_fp8_fp8 v[104:107], a[222:223], v[238:239], v[104:107]// 0000000064F8: D3F30068 0DA3DDDE
	v_pk_mul_f32 v[216:217], v[44:45], v[216:217]              // 000000006500: D3B140D8 1803B12C
	v_pk_mul_f32 v[218:219], v[44:45], v[218:219]              // 000000006508: D3B140DA 1803B52C
	v_cvt_pk_fp8_f32 v198, v216, v217                          // 000000006510: D2A200C6 0003B3D8
	v_cvt_pk_fp8_f32 v198, v218, v219 op_sel:[0,0,1]           // 000000006518: D2A240C6 0003B7DA
	v_pk_mul_f32 v[220:221], v[46:47], v[220:221]              // 000000006520: D3B140DC 1803B92E
	v_pk_mul_f32 v[222:223], v[46:47], v[222:223]              // 000000006528: D3B140DE 1803BD2E
	v_cvt_pk_fp8_f32 v199, v220, v221                          // 000000006530: D2A200C7 0003BBDC
	v_cvt_pk_fp8_f32 v199, v222, v223 op_sel:[0,0,1]           // 000000006538: D2A240C7 0003BFDE
	v_mfma_f32_16x16x32_fp8_fp8 v[108:111], a[208:209], v[240:241], v[108:111]// 000000006540: D3F3006C 0DB3E1D0
	ds_write_b32 v12, v196 offset:4096                         // 000000006548: D81A1000 0000C40C
	v_mfma_f32_16x16x32_fp8_fp8 v[108:111], a[210:211], v[242:243], v[108:111]// 000000006550: D3F3006C 0DB3E5D2
	buffer_load_dwordx4 a[88:91], v41, s[24:27], 0 offen offset:2048// 000000006558: E05C1800 80865829
	v_mfma_f32_16x16x32_fp8_fp8 v[108:111], a[212:213], v[244:245], v[108:111]// 000000006560: D3F3006C 0DB3E9D4
	ds_write_b32 v12, v197 offset:8192                         // 000000006568: D81A2000 0000C50C
	v_mfma_f32_16x16x32_fp8_fp8 v[108:111], a[214:215], v[246:247], v[108:111]// 000000006570: D3F3006C 0DB3EDD6
	v_mfma_f32_16x16x32_fp8_fp8 v[108:111], a[216:217], v[248:249], v[108:111]// 000000006578: D3F3006C 0DB3F1D8
	ds_write_b32 v12, v198 offset:5120                         // 000000006580: D81A1400 0000C60C
	v_mfma_f32_16x16x32_fp8_fp8 v[108:111], a[218:219], v[250:251], v[108:111]// 000000006588: D3F3006C 0DB3F5DA
	buffer_load_dwordx4 a[92:95], v41, s[24:27], 0 offen offset:3072// 000000006590: E05C1C00 80865C29
	v_mfma_f32_16x16x32_fp8_fp8 v[108:111], a[220:221], v[252:253], v[108:111]// 000000006598: D3F3006C 0DB3F9DC
	ds_write_b32 v12, v199 offset:9216                         // 0000000065A0: D81A2400 0000C70C
	v_mfma_f32_16x16x32_fp8_fp8 v[108:111], a[222:223], v[254:255], v[108:111]// 0000000065A8: D3F3006C 0DB3FDDE
	s_waitcnt lgkmcnt(0)                                       // 0000000065B0: BF8CC07F
	s_barrier                                                  // 0000000065B4: BF8A0000
	s_waitcnt vmcnt(28)                                        // 0000000065B8: BF8C4F7C
	v_mfma_f32_16x16x32_fp8_fp8 v[112:115], a[224:225], v[224:225], v[112:115]// 0000000065BC: D3F30070 0DC3C1E0
	ds_read_b64 v[192:193], v13 offset:2048                    // 0000000065C4: D8EC0800 C000000D
	ds_read_b64 v[194:195], v13 offset:2176                    // 0000000065CC: D8EC0880 C200000D
	v_mfma_f32_16x16x32_fp8_fp8 v[112:115], a[226:227], v[226:227], v[112:115]// 0000000065D4: D3F30070 0DC3C5E2
	buffer_load_dwordx4 a[96:99], v42, s[24:27], 0 offen       // 0000000065DC: E05C1000 8086602A
	v_mfma_f32_16x16x32_fp8_fp8 v[112:115], a[228:229], v[228:229], v[112:115]// 0000000065E4: D3F30070 0DC3C9E4
	ds_read_b64 v[196:197], v13 offset:3072                    // 0000000065EC: D8EC0C00 C400000D
	ds_read_b64 v[198:199], v13 offset:3200                    // 0000000065F4: D8EC0C80 C600000D
	v_mfma_f32_16x16x32_fp8_fp8 v[112:115], a[230:231], v[230:231], v[112:115]// 0000000065FC: D3F30070 0DC3CDE6
	v_mfma_f32_16x16x32_fp8_fp8 v[112:115], a[232:233], v[232:233], v[112:115]// 000000006604: D3F30070 0DC3D1E8
	ds_read_b64 v[200:201], v13 offset:4096                    // 00000000660C: D8EC1000 C800000D
	ds_read_b64 v[202:203], v13 offset:4224                    // 000000006614: D8EC1080 CA00000D
	v_mfma_f32_16x16x32_fp8_fp8 v[112:115], a[234:235], v[234:235], v[112:115]// 00000000661C: D3F30070 0DC3D5EA
	buffer_load_dwordx4 a[100:103], v42, s[24:27], 0 offen offset:1024// 000000006624: E05C1400 8086642A
	v_mfma_f32_16x16x32_fp8_fp8 v[112:115], a[236:237], v[236:237], v[112:115]// 00000000662C: D3F30070 0DC3D9EC
	ds_read_b64 v[204:205], v13 offset:5120                    // 000000006634: D8EC1400 CC00000D
	ds_read_b64 v[206:207], v13 offset:5248                    // 00000000663C: D8EC1480 CE00000D
	v_mfma_f32_16x16x32_fp8_fp8 v[112:115], a[238:239], v[238:239], v[112:115]// 000000006644: D3F30070 0DC3DDEE
	v_mfma_f32_16x16x32_fp8_fp8 v[116:119], a[224:225], v[240:241], v[116:119]// 00000000664C: D3F30074 0DD3E1E0
	ds_read_b64 v[208:209], v13 offset:6144                    // 000000006654: D8EC1800 D000000D
	ds_read_b64 v[210:211], v13 offset:6272                    // 00000000665C: D8EC1880 D200000D
	v_mfma_f32_16x16x32_fp8_fp8 v[116:119], a[226:227], v[242:243], v[116:119]// 000000006664: D3F30074 0DD3E5E2
	buffer_load_dwordx4 a[104:107], v42, s[24:27], 0 offen offset:2048// 00000000666C: E05C1800 8086682A
	v_mfma_f32_16x16x32_fp8_fp8 v[116:119], a[228:229], v[244:245], v[116:119]// 000000006674: D3F30074 0DD3E9E4
	ds_read_b64 v[212:213], v13 offset:7168                    // 00000000667C: D8EC1C00 D400000D
	ds_read_b64 v[214:215], v13 offset:7296                    // 000000006684: D8EC1C80 D600000D
	v_mfma_f32_16x16x32_fp8_fp8 v[116:119], a[230:231], v[246:247], v[116:119]// 00000000668C: D3F30074 0DD3EDE6
	v_mfma_f32_16x16x32_fp8_fp8 v[116:119], a[232:233], v[248:249], v[116:119]// 000000006694: D3F30074 0DD3F1E8
	ds_read_b64 v[216:217], v13 offset:8192                    // 00000000669C: D8EC2000 D800000D
	ds_read_b64 v[218:219], v13 offset:8320                    // 0000000066A4: D8EC2080 DA00000D
	v_mfma_f32_16x16x32_fp8_fp8 v[116:119], a[234:235], v[250:251], v[116:119]// 0000000066AC: D3F30074 0DD3F5EA
	buffer_load_dwordx4 a[108:111], v42, s[24:27], 0 offen offset:3072// 0000000066B4: E05C1C00 80866C2A
	v_mfma_f32_16x16x32_fp8_fp8 v[116:119], a[236:237], v[252:253], v[116:119]// 0000000066BC: D3F30074 0DD3F9EC
	ds_read_b64 v[220:221], v13 offset:9216                    // 0000000066C4: D8EC2400 DC00000D
	ds_read_b64 v[222:223], v13 offset:9344                    // 0000000066CC: D8EC2480 DE00000D
	v_mfma_f32_16x16x32_fp8_fp8 v[116:119], a[238:239], v[254:255], v[116:119]// 0000000066D4: D3F30074 0DD3FDEE
	s_waitcnt vmcnt(28)                                        // 0000000066DC: BF8C4F7C
	v_mfma_f32_16x16x32_fp8_fp8 v[120:123], a[240:241], v[224:225], v[120:123]// 0000000066E0: D3F30078 0DE3C1F0
	v_mfma_f32_16x16x32_fp8_fp8 v[120:123], a[242:243], v[226:227], v[120:123]// 0000000066E8: D3F30078 0DE3C5F2
	buffer_load_dwordx4 a[112:115], v43, s[24:27], 0 offen     // 0000000066F0: E05C1000 8086702B
	v_mfma_f32_16x16x32_fp8_fp8 v[120:123], a[244:245], v[228:229], v[120:123]// 0000000066F8: D3F30078 0DE3C9F4
	v_mfma_f32_16x16x32_fp8_fp8 v[120:123], a[246:247], v[230:231], v[120:123]// 000000006700: D3F30078 0DE3CDF6
	v_mfma_f32_16x16x32_fp8_fp8 v[120:123], a[248:249], v[232:233], v[120:123]// 000000006708: D3F30078 0DE3D1F8
	v_mfma_f32_16x16x32_fp8_fp8 v[120:123], a[250:251], v[234:235], v[120:123]// 000000006710: D3F30078 0DE3D5FA
	buffer_load_dwordx4 a[116:119], v43, s[24:27], 0 offen offset:1024// 000000006718: E05C1400 8086742B
	v_mfma_f32_16x16x32_fp8_fp8 v[120:123], a[252:253], v[236:237], v[120:123]// 000000006720: D3F30078 0DE3D9FC
	v_mfma_f32_16x16x32_fp8_fp8 v[120:123], a[254:255], v[238:239], v[120:123]// 000000006728: D3F30078 0DE3DDFE
	v_mfma_f32_16x16x32_fp8_fp8 v[124:127], a[240:241], v[240:241], v[124:127]// 000000006730: D3F3007C 0DF3E1F0
	v_mfma_f32_16x16x32_fp8_fp8 v[124:127], a[242:243], v[242:243], v[124:127]// 000000006738: D3F3007C 0DF3E5F2
	buffer_load_dwordx4 a[120:123], v43, s[24:27], 0 offen offset:2048// 000000006740: E05C1800 8086782B
	v_mfma_f32_16x16x32_fp8_fp8 v[124:127], a[244:245], v[244:245], v[124:127]// 000000006748: D3F3007C 0DF3E9F4
	v_mfma_f32_16x16x32_fp8_fp8 v[124:127], a[246:247], v[246:247], v[124:127]// 000000006750: D3F3007C 0DF3EDF6
	v_mfma_f32_16x16x32_fp8_fp8 v[124:127], a[248:249], v[248:249], v[124:127]// 000000006758: D3F3007C 0DF3F1F8
	v_mfma_f32_16x16x32_fp8_fp8 v[124:127], a[250:251], v[250:251], v[124:127]// 000000006760: D3F3007C 0DF3F5FA
	buffer_load_dwordx4 a[124:127], v43, s[24:27], 0 offen offset:3072// 000000006768: E05C1C00 80867C2B
	v_mfma_f32_16x16x32_fp8_fp8 v[124:127], a[252:253], v[252:253], v[124:127]// 000000006770: D3F3007C 0DF3F9FC
	v_mfma_f32_16x16x32_fp8_fp8 v[124:127], a[254:255], v[254:255], v[124:127]// 000000006778: D3F3007C 0DF3FDFE
	s_add_u32 s60, 0x200, s80                                  // 000000006780: 803C50FF 00000200
	s_cmp_lt_u32 s60, s81                                      // 000000006788: BF0A513C
	s_cselect_b32 s57, s57, 0                                  // 00000000678C: 85398039
	s_cselect_b32 s91, s91, 0                                  // 000000006790: 855B805B
	s_add_u32 s60, 0x200, s80                                  // 000000006794: 803C50FF 00000200
	s_cmp_lt_u32 s60, s81                                      // 00000000679C: BF0A513C
	s_cselect_b32 s58, s58, 0                                  // 0000000067A0: 853A803A
	s_add_u32 s20, s57, s20                                    // 0000000067A4: 80141439
	s_addc_u32 s21, 0, s21                                     // 0000000067A8: 82151580
	s_add_u32 s28, s91, s28                                    // 0000000067AC: 801C1C5B
	s_addc_u32 s29, 0, s29                                     // 0000000067B0: 821D1D80
	s_add_u32 s24, s58, s24                                    // 0000000067B4: 8018183A
	s_addc_u32 s25, 0, s25                                     // 0000000067B8: 82191980
	s_add_u32 s92, s90, s92                                    // 0000000067BC: 805C5C5A
	s_addc_u32 s93, 0, s93                                     // 0000000067C0: 825D5D80
	v_mov_b32_e32 v44, v26                                     // 0000000067C4: 7E58031A
	v_mov_b32_e32 v46, v27                                     // 0000000067C8: 7E5C031B
	v_mov_b32_e32 v45, v44                                     // 0000000067CC: 7E5A032C
	v_mov_b32_e32 v47, v46                                     // 0000000067D0: 7E5E032E
	v_pk_mul_f32 v[64:65], v[44:45], v[64:65]                  // 0000000067D4: D3B14040 1802812C
	v_pk_mul_f32 v[66:67], v[44:45], v[66:67]                  // 0000000067DC: D3B14042 1802852C
	v_pk_mul_f32 v[68:69], v[46:47], v[68:69]                  // 0000000067E4: D3B14044 1802892E
	v_pk_mul_f32 v[70:71], v[46:47], v[70:71]                  // 0000000067EC: D3B14046 18028D2E
	v_pk_mul_f32 v[72:73], v[44:45], v[72:73]                  // 0000000067F4: D3B14048 1802912C
	v_pk_mul_f32 v[74:75], v[44:45], v[74:75]                  // 0000000067FC: D3B1404A 1802952C
	v_pk_mul_f32 v[76:77], v[46:47], v[76:77]                  // 000000006804: D3B1404C 1802992E
	v_pk_mul_f32 v[78:79], v[46:47], v[78:79]                  // 00000000680C: D3B1404E 18029D2E
	v_pk_mul_f32 v[80:81], v[44:45], v[80:81]                  // 000000006814: D3B14050 1802A12C
	v_pk_mul_f32 v[82:83], v[44:45], v[82:83]                  // 00000000681C: D3B14052 1802A52C
	v_pk_mul_f32 v[84:85], v[46:47], v[84:85]                  // 000000006824: D3B14054 1802A92E
	v_pk_mul_f32 v[86:87], v[46:47], v[86:87]                  // 00000000682C: D3B14056 1802AD2E
	v_pk_mul_f32 v[88:89], v[44:45], v[88:89]                  // 000000006834: D3B14058 1802B12C
	v_pk_mul_f32 v[90:91], v[44:45], v[90:91]                  // 00000000683C: D3B1405A 1802B52C
	v_pk_mul_f32 v[92:93], v[46:47], v[92:93]                  // 000000006844: D3B1405C 1802B92E
	v_pk_mul_f32 v[94:95], v[46:47], v[94:95]                  // 00000000684C: D3B1405E 1802BD2E
	v_pk_mul_f32 v[96:97], v[44:45], v[96:97]                  // 000000006854: D3B14060 1802C12C
	v_pk_mul_f32 v[98:99], v[44:45], v[98:99]                  // 00000000685C: D3B14062 1802C52C
	v_pk_mul_f32 v[100:101], v[46:47], v[100:101]              // 000000006864: D3B14064 1802C92E
	v_pk_mul_f32 v[102:103], v[46:47], v[102:103]              // 00000000686C: D3B14066 1802CD2E
	v_pk_mul_f32 v[104:105], v[44:45], v[104:105]              // 000000006874: D3B14068 1802D12C
	v_pk_mul_f32 v[106:107], v[44:45], v[106:107]              // 00000000687C: D3B1406A 1802D52C
	v_pk_mul_f32 v[108:109], v[46:47], v[108:109]              // 000000006884: D3B1406C 1802D92E
	v_pk_mul_f32 v[110:111], v[46:47], v[110:111]              // 00000000688C: D3B1406E 1802DD2E
	v_pk_mul_f32 v[112:113], v[44:45], v[112:113]              // 000000006894: D3B14070 1802E12C
	v_pk_mul_f32 v[114:115], v[44:45], v[114:115]              // 00000000689C: D3B14072 1802E52C
	v_pk_mul_f32 v[116:117], v[46:47], v[116:117]              // 0000000068A4: D3B14074 1802E92E
	v_pk_mul_f32 v[118:119], v[46:47], v[118:119]              // 0000000068AC: D3B14076 1802ED2E
	v_pk_mul_f32 v[120:121], v[44:45], v[120:121]              // 0000000068B4: D3B14078 1802F12C
	v_pk_mul_f32 v[122:123], v[44:45], v[122:123]              // 0000000068BC: D3B1407A 1802F52C
	v_pk_mul_f32 v[124:125], v[46:47], v[124:125]              // 0000000068C4: D3B1407C 1802F92E
	v_pk_mul_f32 v[126:127], v[46:47], v[126:127]              // 0000000068CC: D3B1407E 1802FD2E
	s_addk_i32 s80, 0x100                                      // 0000000068D4: B7500100
	s_cmp_lt_i32 s80, s81                                      // 0000000068D8: BF045150
	s_cbranch_scc0 label_0EB9                                  // 0000000068DC: BF840001
	s_branch label_0410                                        // 0000000068E0: BF82F557

00000000000068e4 <label_0EB9>:
	s_mov_b32 s36, -1                                          // 0000000068E4: BEA400C1
	s_mov_b32 s37, -1                                          // 0000000068E8: BEA500C1
	s_mov_b64 s[60:61], 0                                      // 0000000068EC: BEBC0180
	s_cmp_lt_u32 s82, s66                                      // 0000000068F0: BF0A4252
	s_cselect_b64 s[20:21], s[36:37], s[60:61]                 // 0000000068F4: 85943C24
	s_cmp_lt_u32 s83, s66                                      // 0000000068F8: BF0A4253
	s_cselect_b64 s[22:23], s[36:37], s[60:61]                 // 0000000068FC: 85963C24
	s_cmp_lt_u32 s84, s66                                      // 000000006900: BF0A4254
	s_cselect_b64 s[24:25], s[36:37], s[60:61]                 // 000000006904: 85983C24
	s_cmp_lt_u32 s85, s66                                      // 000000006908: BF0A4255
	s_cselect_b64 s[26:27], s[36:37], s[60:61]                 // 00000000690C: 859A3C24
	s_cmp_lt_u32 s86, s66                                      // 000000006910: BF0A4256
	s_cselect_b64 s[28:29], s[36:37], s[60:61]                 // 000000006914: 859C3C24
	s_cmp_lt_u32 s87, s66                                      // 000000006918: BF0A4257
	s_cselect_b64 s[30:31], s[36:37], s[60:61]                 // 00000000691C: 859E3C24
	s_cmp_lt_u32 s88, s66                                      // 000000006920: BF0A4258
	s_cselect_b64 s[32:33], s[36:37], s[60:61]                 // 000000006924: 85A03C24
	s_cmp_lt_u32 s89, s66                                      // 000000006928: BF0A4259
	s_cselect_b64 s[34:35], s[36:37], s[60:61]                 // 00000000692C: 85A23C24
	v_mov_b32_e32 v56, 0xbfcc4231                              // 000000006930: 7E7002FF BFCC4231
	v_mov_b32_e32 v57, 0xbfcc4231                              // 000000006938: 7E7202FF BFCC4231
	v_mov_b32_e32 v53, 0xffff0000                              // 000000006940: 7E6A02FF FFFF0000
	v_mov_b32_e32 v54, 0x7fff0000                              // 000000006948: 7E6C02FF 7FFF0000
	v_mov_b32_e32 v55, 0x7fff                                  // 000000006950: 7E6E02FF 00007FFF
	s_mul_i32 s60, s5, 16                                      // 000000006958: 923C9005
	s_mul_i32 s60, s60, s70                                    // 00000000695C: 923C463C
	v_lshlrev_b32_e32 v48, 4, v0                               // 000000006960: 24600084
	v_add_u32_e32 v48, s60, v48                                // 000000006964: 6860603C
	s_mul_i32 s60, 64, s70                                     // 000000006968: 923C46C0
	v_add_u32_e32 v49, s60, v48                                // 00000000696C: 6862603C
	v_add_u32_e32 v50, s60, v49                                // 000000006970: 6864623C
	v_add_u32_e32 v51, s60, v50                                // 000000006974: 6866643C
	v_lshrrev_b32_e32 v44, 4, v0                               // 000000006978: 20580084
	v_mul_i32_i24_e32 v3, 34, v44                              // 00000000697C: 0C0658A2
	v_and_b32_e32 v44, 15, v0                                  // 000000006980: 2658008F
	v_mul_i32_i24_e32 v45, 2, v44                              // 000000006984: 0C5A5882
	v_add_u32_e32 v3, v45, v3                                  // 000000006988: 6806072D
	s_mul_i32 s60, s5, 0x88                                    // 00000000698C: 923CFF05 00000088
	v_add_u32_e32 v3, s60, v3                                  // 000000006994: 6806063C
	v_lshlrev_b32_e32 v3, 2, v3                                // 000000006998: 24060682
	v_lshrrev_b32_e32 v44, 1, v0                               // 00000000699C: 20580081
	v_mul_i32_i24_e32 v4, 34, v44                              // 0000000069A0: 0C0858A2
	v_and_b32_e32 v45, 1, v0                                   // 0000000069A4: 265A0081
	v_add_u32_e32 v4, v45, v4                                  // 0000000069A8: 6808092D
	s_mul_i32 s60, s5, 2                                       // 0000000069AC: 923C8205
	v_add_u32_e32 v4, s60, v4                                  // 0000000069B0: 6808083C
	v_lshlrev_b32_e32 v4, 2, v4                                // 0000000069B4: 24080882
	v_mul_f32_dpp v128, v16, v128 row_newbcast:0 row_mask:0xf bank_mask:0xf// 0000000069B8: 0B0100FA FF015010
	v_mul_f32_dpp v129, v16, v129 row_newbcast:1 row_mask:0xf bank_mask:0xf// 0000000069C0: 0B0302FA FF015110
	v_mul_f32_dpp v130, v16, v130 row_newbcast:2 row_mask:0xf bank_mask:0xf// 0000000069C8: 0B0504FA FF015210
	v_mul_f32_dpp v131, v16, v131 row_newbcast:3 row_mask:0xf bank_mask:0xf// 0000000069D0: 0B0706FA FF015310
	v_mul_f32_dpp v132, v16, v132 row_newbcast:0 row_mask:0xf bank_mask:0xf// 0000000069D8: 0B0908FA FF015010
	v_mul_f32_dpp v133, v16, v133 row_newbcast:1 row_mask:0xf bank_mask:0xf// 0000000069E0: 0B0B0AFA FF015110
	v_mul_f32_dpp v134, v16, v134 row_newbcast:2 row_mask:0xf bank_mask:0xf// 0000000069E8: 0B0D0CFA FF015210
	v_mul_f32_dpp v135, v16, v135 row_newbcast:3 row_mask:0xf bank_mask:0xf// 0000000069F0: 0B0F0EFA FF015310
	v_mul_f32_dpp v136, v16, v136 row_newbcast:4 row_mask:0xf bank_mask:0xf// 0000000069F8: 0B1110FA FF015410
	v_mul_f32_dpp v137, v16, v137 row_newbcast:5 row_mask:0xf bank_mask:0xf// 000000006A00: 0B1312FA FF015510
	v_mul_f32_dpp v138, v16, v138 row_newbcast:6 row_mask:0xf bank_mask:0xf// 000000006A08: 0B1514FA FF015610
	v_mul_f32_dpp v139, v16, v139 row_newbcast:7 row_mask:0xf bank_mask:0xf// 000000006A10: 0B1716FA FF015710
	v_mul_f32_dpp v140, v16, v140 row_newbcast:4 row_mask:0xf bank_mask:0xf// 000000006A18: 0B1918FA FF015410
	v_mul_f32_dpp v141, v16, v141 row_newbcast:5 row_mask:0xf bank_mask:0xf// 000000006A20: 0B1B1AFA FF015510
	v_mul_f32_dpp v142, v16, v142 row_newbcast:6 row_mask:0xf bank_mask:0xf// 000000006A28: 0B1D1CFA FF015610
	v_mul_f32_dpp v143, v16, v143 row_newbcast:7 row_mask:0xf bank_mask:0xf// 000000006A30: 0B1F1EFA FF015710
	v_mul_f32_dpp v144, v16, v144 row_newbcast:8 row_mask:0xf bank_mask:0xf// 000000006A38: 0B2120FA FF015810
	v_mul_f32_dpp v145, v16, v145 row_newbcast:9 row_mask:0xf bank_mask:0xf// 000000006A40: 0B2322FA FF015910
	v_mul_f32_dpp v146, v16, v146 row_newbcast:10 row_mask:0xf bank_mask:0xf// 000000006A48: 0B2524FA FF015A10
	v_mul_f32_dpp v147, v16, v147 row_newbcast:11 row_mask:0xf bank_mask:0xf// 000000006A50: 0B2726FA FF015B10
	v_mul_f32_dpp v148, v16, v148 row_newbcast:8 row_mask:0xf bank_mask:0xf// 000000006A58: 0B2928FA FF015810
	v_mul_f32_dpp v149, v16, v149 row_newbcast:9 row_mask:0xf bank_mask:0xf// 000000006A60: 0B2B2AFA FF015910
	v_mul_f32_dpp v150, v16, v150 row_newbcast:10 row_mask:0xf bank_mask:0xf// 000000006A68: 0B2D2CFA FF015A10
	v_mul_f32_dpp v151, v16, v151 row_newbcast:11 row_mask:0xf bank_mask:0xf// 000000006A70: 0B2F2EFA FF015B10
	v_mul_f32_dpp v152, v16, v152 row_newbcast:12 row_mask:0xf bank_mask:0xf// 000000006A78: 0B3130FA FF015C10
	v_mul_f32_dpp v153, v16, v153 row_newbcast:13 row_mask:0xf bank_mask:0xf// 000000006A80: 0B3332FA FF015D10
	v_mul_f32_dpp v154, v16, v154 row_newbcast:14 row_mask:0xf bank_mask:0xf// 000000006A88: 0B3534FA FF015E10
	v_mul_f32_dpp v155, v16, v155 row_newbcast:15 row_mask:0xf bank_mask:0xf// 000000006A90: 0B3736FA FF015F10
	v_mul_f32_dpp v156, v16, v156 row_newbcast:12 row_mask:0xf bank_mask:0xf// 000000006A98: 0B3938FA FF015C10
	v_mul_f32_dpp v157, v16, v157 row_newbcast:13 row_mask:0xf bank_mask:0xf// 000000006AA0: 0B3B3AFA FF015D10
	v_mul_f32_dpp v158, v16, v158 row_newbcast:14 row_mask:0xf bank_mask:0xf// 000000006AA8: 0B3D3CFA FF015E10
	v_mul_f32_dpp v159, v16, v159 row_newbcast:15 row_mask:0xf bank_mask:0xf// 000000006AB0: 0B3F3EFA FF015F10
	v_mul_f32_dpp v160, v17, v160 row_newbcast:0 row_mask:0xf bank_mask:0xf// 000000006AB8: 0B4140FA FF015011
	v_mul_f32_dpp v161, v17, v161 row_newbcast:1 row_mask:0xf bank_mask:0xf// 000000006AC0: 0B4342FA FF015111
	v_mul_f32_dpp v162, v17, v162 row_newbcast:2 row_mask:0xf bank_mask:0xf// 000000006AC8: 0B4544FA FF015211
	v_mul_f32_dpp v163, v17, v163 row_newbcast:3 row_mask:0xf bank_mask:0xf// 000000006AD0: 0B4746FA FF015311
	v_mul_f32_dpp v164, v17, v164 row_newbcast:0 row_mask:0xf bank_mask:0xf// 000000006AD8: 0B4948FA FF015011
	v_mul_f32_dpp v165, v17, v165 row_newbcast:1 row_mask:0xf bank_mask:0xf// 000000006AE0: 0B4B4AFA FF015111
	v_mul_f32_dpp v166, v17, v166 row_newbcast:2 row_mask:0xf bank_mask:0xf// 000000006AE8: 0B4D4CFA FF015211
	v_mul_f32_dpp v167, v17, v167 row_newbcast:3 row_mask:0xf bank_mask:0xf// 000000006AF0: 0B4F4EFA FF015311
	v_mul_f32_dpp v168, v17, v168 row_newbcast:4 row_mask:0xf bank_mask:0xf// 000000006AF8: 0B5150FA FF015411
	v_mul_f32_dpp v169, v17, v169 row_newbcast:5 row_mask:0xf bank_mask:0xf// 000000006B00: 0B5352FA FF015511
	v_mul_f32_dpp v170, v17, v170 row_newbcast:6 row_mask:0xf bank_mask:0xf// 000000006B08: 0B5554FA FF015611
	v_mul_f32_dpp v171, v17, v171 row_newbcast:7 row_mask:0xf bank_mask:0xf// 000000006B10: 0B5756FA FF015711
	v_mul_f32_dpp v172, v17, v172 row_newbcast:4 row_mask:0xf bank_mask:0xf// 000000006B18: 0B5958FA FF015411
	v_mul_f32_dpp v173, v17, v173 row_newbcast:5 row_mask:0xf bank_mask:0xf// 000000006B20: 0B5B5AFA FF015511
	v_mul_f32_dpp v174, v17, v174 row_newbcast:6 row_mask:0xf bank_mask:0xf// 000000006B28: 0B5D5CFA FF015611
	v_mul_f32_dpp v175, v17, v175 row_newbcast:7 row_mask:0xf bank_mask:0xf// 000000006B30: 0B5F5EFA FF015711
	v_mul_f32_dpp v176, v17, v176 row_newbcast:8 row_mask:0xf bank_mask:0xf// 000000006B38: 0B6160FA FF015811
	v_mul_f32_dpp v177, v17, v177 row_newbcast:9 row_mask:0xf bank_mask:0xf// 000000006B40: 0B6362FA FF015911
	v_mul_f32_dpp v178, v17, v178 row_newbcast:10 row_mask:0xf bank_mask:0xf// 000000006B48: 0B6564FA FF015A11
	v_mul_f32_dpp v179, v17, v179 row_newbcast:11 row_mask:0xf bank_mask:0xf// 000000006B50: 0B6766FA FF015B11
	v_mul_f32_dpp v180, v17, v180 row_newbcast:8 row_mask:0xf bank_mask:0xf// 000000006B58: 0B6968FA FF015811
	v_mul_f32_dpp v181, v17, v181 row_newbcast:9 row_mask:0xf bank_mask:0xf// 000000006B60: 0B6B6AFA FF015911
	v_mul_f32_dpp v182, v17, v182 row_newbcast:10 row_mask:0xf bank_mask:0xf// 000000006B68: 0B6D6CFA FF015A11
	v_mul_f32_dpp v183, v17, v183 row_newbcast:11 row_mask:0xf bank_mask:0xf// 000000006B70: 0B6F6EFA FF015B11
	v_mul_f32_dpp v184, v17, v184 row_newbcast:12 row_mask:0xf bank_mask:0xf// 000000006B78: 0B7170FA FF015C11
	v_mul_f32_dpp v185, v17, v185 row_newbcast:13 row_mask:0xf bank_mask:0xf// 000000006B80: 0B7372FA FF015D11
	v_mul_f32_dpp v186, v17, v186 row_newbcast:14 row_mask:0xf bank_mask:0xf// 000000006B88: 0B7574FA FF015E11
	v_mul_f32_dpp v187, v17, v187 row_newbcast:15 row_mask:0xf bank_mask:0xf// 000000006B90: 0B7776FA FF015F11
	v_mul_f32_dpp v188, v17, v188 row_newbcast:12 row_mask:0xf bank_mask:0xf// 000000006B98: 0B7978FA FF015C11
	v_mul_f32_dpp v189, v17, v189 row_newbcast:13 row_mask:0xf bank_mask:0xf// 000000006BA0: 0B7B7AFA FF015D11
	v_mul_f32_dpp v190, v17, v190 row_newbcast:14 row_mask:0xf bank_mask:0xf// 000000006BA8: 0B7D7CFA FF015E11
	v_mul_f32_dpp v191, v17, v191 row_newbcast:15 row_mask:0xf bank_mask:0xf// 000000006BB0: 0B7F7EFA FF015F11
	v_mul_f32_dpp v64, v8, v64 row_newbcast:0 row_mask:0xf bank_mask:0xf// 000000006BB8: 0A8080FA FF015008
	v_mul_f32_dpp v65, v8, v65 row_newbcast:1 row_mask:0xf bank_mask:0xf// 000000006BC0: 0A8282FA FF015108
	v_mul_f32_dpp v66, v8, v66 row_newbcast:2 row_mask:0xf bank_mask:0xf// 000000006BC8: 0A8484FA FF015208
	v_mul_f32_dpp v67, v8, v67 row_newbcast:3 row_mask:0xf bank_mask:0xf// 000000006BD0: 0A8686FA FF015308
	v_mul_f32_dpp v68, v8, v68 row_newbcast:0 row_mask:0xf bank_mask:0xf// 000000006BD8: 0A8888FA FF015008
	v_mul_f32_dpp v69, v8, v69 row_newbcast:1 row_mask:0xf bank_mask:0xf// 000000006BE0: 0A8A8AFA FF015108
	v_mul_f32_dpp v70, v8, v70 row_newbcast:2 row_mask:0xf bank_mask:0xf// 000000006BE8: 0A8C8CFA FF015208
	v_mul_f32_dpp v71, v8, v71 row_newbcast:3 row_mask:0xf bank_mask:0xf// 000000006BF0: 0A8E8EFA FF015308
	v_mul_f32_dpp v72, v8, v72 row_newbcast:4 row_mask:0xf bank_mask:0xf// 000000006BF8: 0A9090FA FF015408
	v_mul_f32_dpp v73, v8, v73 row_newbcast:5 row_mask:0xf bank_mask:0xf// 000000006C00: 0A9292FA FF015508
	v_mul_f32_dpp v74, v8, v74 row_newbcast:6 row_mask:0xf bank_mask:0xf// 000000006C08: 0A9494FA FF015608
	v_mul_f32_dpp v75, v8, v75 row_newbcast:7 row_mask:0xf bank_mask:0xf// 000000006C10: 0A9696FA FF015708
	v_mul_f32_dpp v76, v8, v76 row_newbcast:4 row_mask:0xf bank_mask:0xf// 000000006C18: 0A9898FA FF015408
	v_mul_f32_dpp v77, v8, v77 row_newbcast:5 row_mask:0xf bank_mask:0xf// 000000006C20: 0A9A9AFA FF015508
	v_mul_f32_dpp v78, v8, v78 row_newbcast:6 row_mask:0xf bank_mask:0xf// 000000006C28: 0A9C9CFA FF015608
	v_mul_f32_dpp v79, v8, v79 row_newbcast:7 row_mask:0xf bank_mask:0xf// 000000006C30: 0A9E9EFA FF015708
	v_mul_f32_dpp v80, v8, v80 row_newbcast:8 row_mask:0xf bank_mask:0xf// 000000006C38: 0AA0A0FA FF015808
	v_mul_f32_dpp v81, v8, v81 row_newbcast:9 row_mask:0xf bank_mask:0xf// 000000006C40: 0AA2A2FA FF015908
	v_mul_f32_dpp v82, v8, v82 row_newbcast:10 row_mask:0xf bank_mask:0xf// 000000006C48: 0AA4A4FA FF015A08
	v_mul_f32_dpp v83, v8, v83 row_newbcast:11 row_mask:0xf bank_mask:0xf// 000000006C50: 0AA6A6FA FF015B08
	v_mul_f32_dpp v84, v8, v84 row_newbcast:8 row_mask:0xf bank_mask:0xf// 000000006C58: 0AA8A8FA FF015808
	v_mul_f32_dpp v85, v8, v85 row_newbcast:9 row_mask:0xf bank_mask:0xf// 000000006C60: 0AAAAAFA FF015908
	v_mul_f32_dpp v86, v8, v86 row_newbcast:10 row_mask:0xf bank_mask:0xf// 000000006C68: 0AACACFA FF015A08
	v_mul_f32_dpp v87, v8, v87 row_newbcast:11 row_mask:0xf bank_mask:0xf// 000000006C70: 0AAEAEFA FF015B08
	v_mul_f32_dpp v88, v8, v88 row_newbcast:12 row_mask:0xf bank_mask:0xf// 000000006C78: 0AB0B0FA FF015C08
	v_mul_f32_dpp v89, v8, v89 row_newbcast:13 row_mask:0xf bank_mask:0xf// 000000006C80: 0AB2B2FA FF015D08
	v_mul_f32_dpp v90, v8, v90 row_newbcast:14 row_mask:0xf bank_mask:0xf// 000000006C88: 0AB4B4FA FF015E08
	v_mul_f32_dpp v91, v8, v91 row_newbcast:15 row_mask:0xf bank_mask:0xf// 000000006C90: 0AB6B6FA FF015F08
	v_mul_f32_dpp v92, v8, v92 row_newbcast:12 row_mask:0xf bank_mask:0xf// 000000006C98: 0AB8B8FA FF015C08
	v_mul_f32_dpp v93, v8, v93 row_newbcast:13 row_mask:0xf bank_mask:0xf// 000000006CA0: 0ABABAFA FF015D08
	v_mul_f32_dpp v94, v8, v94 row_newbcast:14 row_mask:0xf bank_mask:0xf// 000000006CA8: 0ABCBCFA FF015E08
	v_mul_f32_dpp v95, v8, v95 row_newbcast:15 row_mask:0xf bank_mask:0xf// 000000006CB0: 0ABEBEFA FF015F08
	v_mul_f32_dpp v96, v9, v96 row_newbcast:0 row_mask:0xf bank_mask:0xf// 000000006CB8: 0AC0C0FA FF015009
	v_mul_f32_dpp v97, v9, v97 row_newbcast:1 row_mask:0xf bank_mask:0xf// 000000006CC0: 0AC2C2FA FF015109
	v_mul_f32_dpp v98, v9, v98 row_newbcast:2 row_mask:0xf bank_mask:0xf// 000000006CC8: 0AC4C4FA FF015209
	v_mul_f32_dpp v99, v9, v99 row_newbcast:3 row_mask:0xf bank_mask:0xf// 000000006CD0: 0AC6C6FA FF015309
	v_mul_f32_dpp v100, v9, v100 row_newbcast:0 row_mask:0xf bank_mask:0xf// 000000006CD8: 0AC8C8FA FF015009
	v_mul_f32_dpp v101, v9, v101 row_newbcast:1 row_mask:0xf bank_mask:0xf// 000000006CE0: 0ACACAFA FF015109
	v_mul_f32_dpp v102, v9, v102 row_newbcast:2 row_mask:0xf bank_mask:0xf// 000000006CE8: 0ACCCCFA FF015209
	v_mul_f32_dpp v103, v9, v103 row_newbcast:3 row_mask:0xf bank_mask:0xf// 000000006CF0: 0ACECEFA FF015309
	v_mul_f32_dpp v104, v9, v104 row_newbcast:4 row_mask:0xf bank_mask:0xf// 000000006CF8: 0AD0D0FA FF015409
	v_mul_f32_dpp v105, v9, v105 row_newbcast:5 row_mask:0xf bank_mask:0xf// 000000006D00: 0AD2D2FA FF015509
	v_mul_f32_dpp v106, v9, v106 row_newbcast:6 row_mask:0xf bank_mask:0xf// 000000006D08: 0AD4D4FA FF015609
	v_mul_f32_dpp v107, v9, v107 row_newbcast:7 row_mask:0xf bank_mask:0xf// 000000006D10: 0AD6D6FA FF015709
	v_mul_f32_dpp v108, v9, v108 row_newbcast:4 row_mask:0xf bank_mask:0xf// 000000006D18: 0AD8D8FA FF015409
	v_mul_f32_dpp v109, v9, v109 row_newbcast:5 row_mask:0xf bank_mask:0xf// 000000006D20: 0ADADAFA FF015509
	v_mul_f32_dpp v110, v9, v110 row_newbcast:6 row_mask:0xf bank_mask:0xf// 000000006D28: 0ADCDCFA FF015609
	v_mul_f32_dpp v111, v9, v111 row_newbcast:7 row_mask:0xf bank_mask:0xf// 000000006D30: 0ADEDEFA FF015709
	v_mul_f32_dpp v112, v9, v112 row_newbcast:8 row_mask:0xf bank_mask:0xf// 000000006D38: 0AE0E0FA FF015809
	v_mul_f32_dpp v113, v9, v113 row_newbcast:9 row_mask:0xf bank_mask:0xf// 000000006D40: 0AE2E2FA FF015909
	v_mul_f32_dpp v114, v9, v114 row_newbcast:10 row_mask:0xf bank_mask:0xf// 000000006D48: 0AE4E4FA FF015A09
	v_mul_f32_dpp v115, v9, v115 row_newbcast:11 row_mask:0xf bank_mask:0xf// 000000006D50: 0AE6E6FA FF015B09
	v_mul_f32_dpp v116, v9, v116 row_newbcast:8 row_mask:0xf bank_mask:0xf// 000000006D58: 0AE8E8FA FF015809
	v_mul_f32_dpp v117, v9, v117 row_newbcast:9 row_mask:0xf bank_mask:0xf// 000000006D60: 0AEAEAFA FF015909
	v_mul_f32_dpp v118, v9, v118 row_newbcast:10 row_mask:0xf bank_mask:0xf// 000000006D68: 0AECECFA FF015A09
	v_mul_f32_dpp v119, v9, v119 row_newbcast:11 row_mask:0xf bank_mask:0xf// 000000006D70: 0AEEEEFA FF015B09
	v_mul_f32_dpp v120, v9, v120 row_newbcast:12 row_mask:0xf bank_mask:0xf// 000000006D78: 0AF0F0FA FF015C09
	v_mul_f32_dpp v121, v9, v121 row_newbcast:13 row_mask:0xf bank_mask:0xf// 000000006D80: 0AF2F2FA FF015D09
	v_mul_f32_dpp v122, v9, v122 row_newbcast:14 row_mask:0xf bank_mask:0xf// 000000006D88: 0AF4F4FA FF015E09
	v_mul_f32_dpp v123, v9, v123 row_newbcast:15 row_mask:0xf bank_mask:0xf// 000000006D90: 0AF6F6FA FF015F09
	v_mul_f32_dpp v124, v9, v124 row_newbcast:12 row_mask:0xf bank_mask:0xf// 000000006D98: 0AF8F8FA FF015C09
	v_mul_f32_dpp v125, v9, v125 row_newbcast:13 row_mask:0xf bank_mask:0xf// 000000006DA0: 0AFAFAFA FF015D09
	v_mul_f32_dpp v126, v9, v126 row_newbcast:14 row_mask:0xf bank_mask:0xf// 000000006DA8: 0AFCFCFA FF015E09
	v_mul_f32_dpp v127, v9, v127 row_newbcast:15 row_mask:0xf bank_mask:0xf// 000000006DB0: 0AFEFEFA FF015F09
	s_waitcnt vmcnt(28)                                        // 000000006DB8: BF8C4F7C
	buffer_load_dwordx4 a[0:3], v48, s[12:15], 0 offen         // 000000006DBC: E05C1000 80830030
	v_mul_f32_e32 v44, v128, v128                              // 000000006DC4: 0A590180
	v_mul_f32_e32 v45, v129, v129                              // 000000006DC8: 0A5B0381
	v_mul_f32_e32 v46, v130, v130                              // 000000006DCC: 0A5D0582
	v_mul_f32_e32 v47, v131, v131                              // 000000006DD0: 0A5F0783
	v_fma_f32 v44, v44, s3, v56                                // 000000006DD4: D1CB002C 04E0072C
	v_fma_f32 v45, v45, s3, v56                                // 000000006DDC: D1CB002D 04E0072D
	v_fma_f32 v46, v46, s3, v56                                // 000000006DE4: D1CB002E 04E0072E
	v_fma_f32 v47, v47, s3, v56                                // 000000006DEC: D1CB002F 04E0072F
	v_mul_f32_e32 v44, v44, v128                               // 000000006DF4: 0A59012C
	v_mul_f32_e32 v45, v45, v129                               // 000000006DF8: 0A5B032D
	v_mul_f32_e32 v46, v46, v130                               // 000000006DFC: 0A5D052E
	v_mul_f32_e32 v47, v47, v131                               // 000000006E00: 0A5F072F
	v_mul_f32_e64 v44, v44, s6                                 // 000000006E04: D105002C 00000D2C
	v_mul_f32_e64 v45, v45, s6                                 // 000000006E0C: D105002D 00000D2D
	v_mul_f32_e64 v46, v46, s6                                 // 000000006E14: D105002E 00000D2E
	v_mul_f32_e64 v47, v47, s6                                 // 000000006E1C: D105002F 00000D2F
	v_exp_f32_e32 v44, v44                                     // 000000006E24: 7E58412C
	v_exp_f32_e32 v45, v45                                     // 000000006E28: 7E5A412D
	v_exp_f32_e32 v46, v46                                     // 000000006E2C: 7E5C412E
	v_exp_f32_e32 v47, v47                                     // 000000006E30: 7E5E412F
	buffer_load_dwordx4 a[4:7], v49, s[12:15], 0 offen         // 000000006E34: E05C1000 80830431
	v_add_f32_e64 v44, v44, 1.0                                // 000000006E3C: D101002C 0001E52C
	v_add_f32_e64 v45, v45, 1.0                                // 000000006E44: D101002D 0001E52D
	v_add_f32_e64 v46, v46, 1.0                                // 000000006E4C: D101002E 0001E52E
	v_add_f32_e64 v47, v47, 1.0                                // 000000006E54: D101002F 0001E52F
	v_rcp_f32_e32 v44, v44                                     // 000000006E5C: 7E58452C
	v_rcp_f32_e32 v45, v45                                     // 000000006E60: 7E5A452D
	v_rcp_f32_e32 v46, v46                                     // 000000006E64: 7E5C452E
	v_rcp_f32_e32 v47, v47                                     // 000000006E68: 7E5E452F
	v_pk_mul_f32 v[128:129], v[128:129], v[44:45]              // 000000006E6C: D3B14080 18025980
	v_pk_mul_f32 v[130:131], v[130:131], v[46:47]              // 000000006E74: D3B14082 18025D82
	v_pk_mul_f32 v[128:129], v[128:129], v[64:65]              // 000000006E7C: D3B14080 18028180
	v_pk_mul_f32 v[130:131], v[130:131], v[66:67]              // 000000006E84: D3B14082 18028582
	buffer_load_dwordx4 a[8:11], v50, s[12:15], 0 offen        // 000000006E8C: E05C1000 80830832
	v_mul_f32_e32 v44, v132, v132                              // 000000006E94: 0A590984
	v_mul_f32_e32 v45, v133, v133                              // 000000006E98: 0A5B0B85
	v_mul_f32_e32 v46, v134, v134                              // 000000006E9C: 0A5D0D86
	v_mul_f32_e32 v47, v135, v135                              // 000000006EA0: 0A5F0F87
	v_fma_f32 v44, v44, s3, v56                                // 000000006EA4: D1CB002C 04E0072C
	v_fma_f32 v45, v45, s3, v56                                // 000000006EAC: D1CB002D 04E0072D
	v_fma_f32 v46, v46, s3, v56                                // 000000006EB4: D1CB002E 04E0072E
	v_fma_f32 v47, v47, s3, v56                                // 000000006EBC: D1CB002F 04E0072F
	v_mul_f32_e32 v44, v44, v132                               // 000000006EC4: 0A59092C
	v_mul_f32_e32 v45, v45, v133                               // 000000006EC8: 0A5B0B2D
	v_mul_f32_e32 v46, v46, v134                               // 000000006ECC: 0A5D0D2E
	v_mul_f32_e32 v47, v47, v135                               // 000000006ED0: 0A5F0F2F
	v_mul_f32_e64 v44, v44, s6                                 // 000000006ED4: D105002C 00000D2C
	v_mul_f32_e64 v45, v45, s6                                 // 000000006EDC: D105002D 00000D2D
	v_mul_f32_e64 v46, v46, s6                                 // 000000006EE4: D105002E 00000D2E
	v_mul_f32_e64 v47, v47, s6                                 // 000000006EEC: D105002F 00000D2F
	v_exp_f32_e32 v44, v44                                     // 000000006EF4: 7E58412C
	v_exp_f32_e32 v45, v45                                     // 000000006EF8: 7E5A412D
	v_exp_f32_e32 v46, v46                                     // 000000006EFC: 7E5C412E
	v_exp_f32_e32 v47, v47                                     // 000000006F00: 7E5E412F
	buffer_load_dwordx4 a[12:15], v51, s[12:15], 0 offen       // 000000006F04: E05C1000 80830C33
	s_add_u32 s12, s78, s12                                    // 000000006F0C: 800C0C4E
	s_addc_u32 s13, 0, s13                                     // 000000006F10: 820D0D80
	v_add_f32_e64 v44, v44, 1.0                                // 000000006F14: D101002C 0001E52C
	v_add_f32_e64 v45, v45, 1.0                                // 000000006F1C: D101002D 0001E52D
	v_add_f32_e64 v46, v46, 1.0                                // 000000006F24: D101002E 0001E52E
	v_add_f32_e64 v47, v47, 1.0                                // 000000006F2C: D101002F 0001E52F
	v_rcp_f32_e32 v44, v44                                     // 000000006F34: 7E58452C
	v_rcp_f32_e32 v45, v45                                     // 000000006F38: 7E5A452D
	v_rcp_f32_e32 v46, v46                                     // 000000006F3C: 7E5C452E
	v_rcp_f32_e32 v47, v47                                     // 000000006F40: 7E5E452F
	v_pk_mul_f32 v[132:133], v[132:133], v[44:45]              // 000000006F44: D3B14084 18025984
	v_pk_mul_f32 v[134:135], v[134:135], v[46:47]              // 000000006F4C: D3B14086 18025D86
	v_pk_mul_f32 v[132:133], v[132:133], v[68:69]              // 000000006F54: D3B14084 18028984
	v_pk_mul_f32 v[134:135], v[134:135], v[70:71]              // 000000006F5C: D3B14086 18028D86
	s_waitcnt vmcnt(28)                                        // 000000006F64: BF8C4F7C
	buffer_load_dwordx4 a[16:19], v48, s[12:15], 0 offen       // 000000006F68: E05C1000 80831030
	v_mul_f32_e32 v44, v136, v136                              // 000000006F70: 0A591188
	v_mul_f32_e32 v45, v137, v137                              // 000000006F74: 0A5B1389
	v_mul_f32_e32 v46, v138, v138                              // 000000006F78: 0A5D158A
	v_mul_f32_e32 v47, v139, v139                              // 000000006F7C: 0A5F178B
	v_fma_f32 v44, v44, s3, v56                                // 000000006F80: D1CB002C 04E0072C
	v_fma_f32 v45, v45, s3, v56                                // 000000006F88: D1CB002D 04E0072D
	v_fma_f32 v46, v46, s3, v56                                // 000000006F90: D1CB002E 04E0072E
	v_fma_f32 v47, v47, s3, v56                                // 000000006F98: D1CB002F 04E0072F
	v_mul_f32_e32 v44, v44, v136                               // 000000006FA0: 0A59112C
	v_mul_f32_e32 v45, v45, v137                               // 000000006FA4: 0A5B132D
	v_mul_f32_e32 v46, v46, v138                               // 000000006FA8: 0A5D152E
	v_mul_f32_e32 v47, v47, v139                               // 000000006FAC: 0A5F172F
	v_mul_f32_e64 v44, v44, s6                                 // 000000006FB0: D105002C 00000D2C
	v_mul_f32_e64 v45, v45, s6                                 // 000000006FB8: D105002D 00000D2D
	v_mul_f32_e64 v46, v46, s6                                 // 000000006FC0: D105002E 00000D2E
	v_mul_f32_e64 v47, v47, s6                                 // 000000006FC8: D105002F 00000D2F
	v_exp_f32_e32 v44, v44                                     // 000000006FD0: 7E58412C
	v_exp_f32_e32 v45, v45                                     // 000000006FD4: 7E5A412D
	v_exp_f32_e32 v46, v46                                     // 000000006FD8: 7E5C412E
	v_exp_f32_e32 v47, v47                                     // 000000006FDC: 7E5E412F
	buffer_load_dwordx4 a[20:23], v49, s[12:15], 0 offen       // 000000006FE0: E05C1000 80831431
	v_add_f32_e64 v44, v44, 1.0                                // 000000006FE8: D101002C 0001E52C
	v_add_f32_e64 v45, v45, 1.0                                // 000000006FF0: D101002D 0001E52D
	v_add_f32_e64 v46, v46, 1.0                                // 000000006FF8: D101002E 0001E52E
	v_add_f32_e64 v47, v47, 1.0                                // 000000007000: D101002F 0001E52F
	v_rcp_f32_e32 v44, v44                                     // 000000007008: 7E58452C
	v_rcp_f32_e32 v45, v45                                     // 00000000700C: 7E5A452D
	v_rcp_f32_e32 v46, v46                                     // 000000007010: 7E5C452E
	v_rcp_f32_e32 v47, v47                                     // 000000007014: 7E5E452F
	v_pk_mul_f32 v[136:137], v[136:137], v[44:45]              // 000000007018: D3B14088 18025988
	v_pk_mul_f32 v[138:139], v[138:139], v[46:47]              // 000000007020: D3B1408A 18025D8A
	v_pk_mul_f32 v[136:137], v[136:137], v[72:73]              // 000000007028: D3B14088 18029188
	v_pk_mul_f32 v[138:139], v[138:139], v[74:75]              // 000000007030: D3B1408A 1802958A
	buffer_load_dwordx4 a[24:27], v50, s[12:15], 0 offen       // 000000007038: E05C1000 80831832
	v_mul_f32_e32 v44, v140, v140                              // 000000007040: 0A59198C
	v_mul_f32_e32 v45, v141, v141                              // 000000007044: 0A5B1B8D
	v_mul_f32_e32 v46, v142, v142                              // 000000007048: 0A5D1D8E
	v_mul_f32_e32 v47, v143, v143                              // 00000000704C: 0A5F1F8F
	v_fma_f32 v44, v44, s3, v56                                // 000000007050: D1CB002C 04E0072C
	v_fma_f32 v45, v45, s3, v56                                // 000000007058: D1CB002D 04E0072D
	v_fma_f32 v46, v46, s3, v56                                // 000000007060: D1CB002E 04E0072E
	v_fma_f32 v47, v47, s3, v56                                // 000000007068: D1CB002F 04E0072F
	v_mul_f32_e32 v44, v44, v140                               // 000000007070: 0A59192C
	v_mul_f32_e32 v45, v45, v141                               // 000000007074: 0A5B1B2D
	v_mul_f32_e32 v46, v46, v142                               // 000000007078: 0A5D1D2E
	v_mul_f32_e32 v47, v47, v143                               // 00000000707C: 0A5F1F2F
	v_mul_f32_e64 v44, v44, s6                                 // 000000007080: D105002C 00000D2C
	v_mul_f32_e64 v45, v45, s6                                 // 000000007088: D105002D 00000D2D
	v_mul_f32_e64 v46, v46, s6                                 // 000000007090: D105002E 00000D2E
	v_mul_f32_e64 v47, v47, s6                                 // 000000007098: D105002F 00000D2F
	v_exp_f32_e32 v44, v44                                     // 0000000070A0: 7E58412C
	v_exp_f32_e32 v45, v45                                     // 0000000070A4: 7E5A412D
	v_exp_f32_e32 v46, v46                                     // 0000000070A8: 7E5C412E
	v_exp_f32_e32 v47, v47                                     // 0000000070AC: 7E5E412F
	buffer_load_dwordx4 a[28:31], v51, s[12:15], 0 offen       // 0000000070B0: E05C1000 80831C33
	s_add_u32 s12, s78, s12                                    // 0000000070B8: 800C0C4E
	s_addc_u32 s13, 0, s13                                     // 0000000070BC: 820D0D80
	v_add_f32_e64 v44, v44, 1.0                                // 0000000070C0: D101002C 0001E52C
	v_add_f32_e64 v45, v45, 1.0                                // 0000000070C8: D101002D 0001E52D
	v_add_f32_e64 v46, v46, 1.0                                // 0000000070D0: D101002E 0001E52E
	v_add_f32_e64 v47, v47, 1.0                                // 0000000070D8: D101002F 0001E52F
	v_rcp_f32_e32 v44, v44                                     // 0000000070E0: 7E58452C
	v_rcp_f32_e32 v45, v45                                     // 0000000070E4: 7E5A452D
	v_rcp_f32_e32 v46, v46                                     // 0000000070E8: 7E5C452E
	v_rcp_f32_e32 v47, v47                                     // 0000000070EC: 7E5E452F
	v_pk_mul_f32 v[140:141], v[140:141], v[44:45]              // 0000000070F0: D3B1408C 1802598C
	v_pk_mul_f32 v[142:143], v[142:143], v[46:47]              // 0000000070F8: D3B1408E 18025D8E
	v_pk_mul_f32 v[140:141], v[140:141], v[76:77]              // 000000007100: D3B1408C 1802998C
	v_pk_mul_f32 v[142:143], v[142:143], v[78:79]              // 000000007108: D3B1408E 18029D8E
	s_waitcnt vmcnt(28)                                        // 000000007110: BF8C4F7C
	buffer_load_dwordx4 a[32:35], v48, s[12:15], 0 offen       // 000000007114: E05C1000 80832030
	v_mul_f32_e32 v44, v144, v144                              // 00000000711C: 0A592190
	v_mul_f32_e32 v45, v145, v145                              // 000000007120: 0A5B2391
	v_mul_f32_e32 v46, v146, v146                              // 000000007124: 0A5D2592
	v_mul_f32_e32 v47, v147, v147                              // 000000007128: 0A5F2793
	v_fma_f32 v44, v44, s3, v56                                // 00000000712C: D1CB002C 04E0072C
	v_fma_f32 v45, v45, s3, v56                                // 000000007134: D1CB002D 04E0072D
	v_fma_f32 v46, v46, s3, v56                                // 00000000713C: D1CB002E 04E0072E
	v_fma_f32 v47, v47, s3, v56                                // 000000007144: D1CB002F 04E0072F
	v_mul_f32_e32 v44, v44, v144                               // 00000000714C: 0A59212C
	v_mul_f32_e32 v45, v45, v145                               // 000000007150: 0A5B232D
	v_mul_f32_e32 v46, v46, v146                               // 000000007154: 0A5D252E
	v_mul_f32_e32 v47, v47, v147                               // 000000007158: 0A5F272F
	v_mul_f32_e64 v44, v44, s6                                 // 00000000715C: D105002C 00000D2C
	v_mul_f32_e64 v45, v45, s6                                 // 000000007164: D105002D 00000D2D
	v_mul_f32_e64 v46, v46, s6                                 // 00000000716C: D105002E 00000D2E
	v_mul_f32_e64 v47, v47, s6                                 // 000000007174: D105002F 00000D2F
	v_exp_f32_e32 v44, v44                                     // 00000000717C: 7E58412C
	v_exp_f32_e32 v45, v45                                     // 000000007180: 7E5A412D
	v_exp_f32_e32 v46, v46                                     // 000000007184: 7E5C412E
	v_exp_f32_e32 v47, v47                                     // 000000007188: 7E5E412F
	buffer_load_dwordx4 a[36:39], v49, s[12:15], 0 offen       // 00000000718C: E05C1000 80832431
	v_add_f32_e64 v44, v44, 1.0                                // 000000007194: D101002C 0001E52C
	v_add_f32_e64 v45, v45, 1.0                                // 00000000719C: D101002D 0001E52D
	v_add_f32_e64 v46, v46, 1.0                                // 0000000071A4: D101002E 0001E52E
	v_add_f32_e64 v47, v47, 1.0                                // 0000000071AC: D101002F 0001E52F
	v_rcp_f32_e32 v44, v44                                     // 0000000071B4: 7E58452C
	v_rcp_f32_e32 v45, v45                                     // 0000000071B8: 7E5A452D
	v_rcp_f32_e32 v46, v46                                     // 0000000071BC: 7E5C452E
	v_rcp_f32_e32 v47, v47                                     // 0000000071C0: 7E5E452F
	v_pk_mul_f32 v[144:145], v[144:145], v[44:45]              // 0000000071C4: D3B14090 18025990
	v_pk_mul_f32 v[146:147], v[146:147], v[46:47]              // 0000000071CC: D3B14092 18025D92
	v_pk_mul_f32 v[144:145], v[144:145], v[80:81]              // 0000000071D4: D3B14090 1802A190
	v_pk_mul_f32 v[146:147], v[146:147], v[82:83]              // 0000000071DC: D3B14092 1802A592
	buffer_load_dwordx4 a[40:43], v50, s[12:15], 0 offen       // 0000000071E4: E05C1000 80832832
	v_mul_f32_e32 v44, v148, v148                              // 0000000071EC: 0A592994
	v_mul_f32_e32 v45, v149, v149                              // 0000000071F0: 0A5B2B95
	v_mul_f32_e32 v46, v150, v150                              // 0000000071F4: 0A5D2D96
	v_mul_f32_e32 v47, v151, v151                              // 0000000071F8: 0A5F2F97
	v_fma_f32 v44, v44, s3, v56                                // 0000000071FC: D1CB002C 04E0072C
	v_fma_f32 v45, v45, s3, v56                                // 000000007204: D1CB002D 04E0072D
	v_fma_f32 v46, v46, s3, v56                                // 00000000720C: D1CB002E 04E0072E
	v_fma_f32 v47, v47, s3, v56                                // 000000007214: D1CB002F 04E0072F
	v_mul_f32_e32 v44, v44, v148                               // 00000000721C: 0A59292C
	v_mul_f32_e32 v45, v45, v149                               // 000000007220: 0A5B2B2D
	v_mul_f32_e32 v46, v46, v150                               // 000000007224: 0A5D2D2E
	v_mul_f32_e32 v47, v47, v151                               // 000000007228: 0A5F2F2F
	v_mul_f32_e64 v44, v44, s6                                 // 00000000722C: D105002C 00000D2C
	v_mul_f32_e64 v45, v45, s6                                 // 000000007234: D105002D 00000D2D
	v_mul_f32_e64 v46, v46, s6                                 // 00000000723C: D105002E 00000D2E
	v_mul_f32_e64 v47, v47, s6                                 // 000000007244: D105002F 00000D2F
	v_exp_f32_e32 v44, v44                                     // 00000000724C: 7E58412C
	v_exp_f32_e32 v45, v45                                     // 000000007250: 7E5A412D
	v_exp_f32_e32 v46, v46                                     // 000000007254: 7E5C412E
	v_exp_f32_e32 v47, v47                                     // 000000007258: 7E5E412F
	buffer_load_dwordx4 a[44:47], v51, s[12:15], 0 offen       // 00000000725C: E05C1000 80832C33
	s_add_u32 s12, s78, s12                                    // 000000007264: 800C0C4E
	s_addc_u32 s13, 0, s13                                     // 000000007268: 820D0D80
	v_add_f32_e64 v44, v44, 1.0                                // 00000000726C: D101002C 0001E52C
	v_add_f32_e64 v45, v45, 1.0                                // 000000007274: D101002D 0001E52D
	v_add_f32_e64 v46, v46, 1.0                                // 00000000727C: D101002E 0001E52E
	v_add_f32_e64 v47, v47, 1.0                                // 000000007284: D101002F 0001E52F
	v_rcp_f32_e32 v44, v44                                     // 00000000728C: 7E58452C
	v_rcp_f32_e32 v45, v45                                     // 000000007290: 7E5A452D
	v_rcp_f32_e32 v46, v46                                     // 000000007294: 7E5C452E
	v_rcp_f32_e32 v47, v47                                     // 000000007298: 7E5E452F
	v_pk_mul_f32 v[148:149], v[148:149], v[44:45]              // 00000000729C: D3B14094 18025994
	v_pk_mul_f32 v[150:151], v[150:151], v[46:47]              // 0000000072A4: D3B14096 18025D96
	v_pk_mul_f32 v[148:149], v[148:149], v[84:85]              // 0000000072AC: D3B14094 1802A994
	v_pk_mul_f32 v[150:151], v[150:151], v[86:87]              // 0000000072B4: D3B14096 1802AD96
	s_waitcnt vmcnt(28)                                        // 0000000072BC: BF8C4F7C
	buffer_load_dwordx4 a[48:51], v48, s[12:15], 0 offen       // 0000000072C0: E05C1000 80833030
	v_mul_f32_e32 v44, v152, v152                              // 0000000072C8: 0A593198
	v_mul_f32_e32 v45, v153, v153                              // 0000000072CC: 0A5B3399
	v_mul_f32_e32 v46, v154, v154                              // 0000000072D0: 0A5D359A
	v_mul_f32_e32 v47, v155, v155                              // 0000000072D4: 0A5F379B
	v_fma_f32 v44, v44, s3, v56                                // 0000000072D8: D1CB002C 04E0072C
	v_fma_f32 v45, v45, s3, v56                                // 0000000072E0: D1CB002D 04E0072D
	v_fma_f32 v46, v46, s3, v56                                // 0000000072E8: D1CB002E 04E0072E
	v_fma_f32 v47, v47, s3, v56                                // 0000000072F0: D1CB002F 04E0072F
	v_mul_f32_e32 v44, v44, v152                               // 0000000072F8: 0A59312C
	v_mul_f32_e32 v45, v45, v153                               // 0000000072FC: 0A5B332D
	v_mul_f32_e32 v46, v46, v154                               // 000000007300: 0A5D352E
	v_mul_f32_e32 v47, v47, v155                               // 000000007304: 0A5F372F
	v_mul_f32_e64 v44, v44, s6                                 // 000000007308: D105002C 00000D2C
	v_mul_f32_e64 v45, v45, s6                                 // 000000007310: D105002D 00000D2D
	v_mul_f32_e64 v46, v46, s6                                 // 000000007318: D105002E 00000D2E
	v_mul_f32_e64 v47, v47, s6                                 // 000000007320: D105002F 00000D2F
	v_exp_f32_e32 v44, v44                                     // 000000007328: 7E58412C
	v_exp_f32_e32 v45, v45                                     // 00000000732C: 7E5A412D
	v_exp_f32_e32 v46, v46                                     // 000000007330: 7E5C412E
	v_exp_f32_e32 v47, v47                                     // 000000007334: 7E5E412F
	buffer_load_dwordx4 a[52:55], v49, s[12:15], 0 offen       // 000000007338: E05C1000 80833431
	v_add_f32_e64 v44, v44, 1.0                                // 000000007340: D101002C 0001E52C
	v_add_f32_e64 v45, v45, 1.0                                // 000000007348: D101002D 0001E52D
	v_add_f32_e64 v46, v46, 1.0                                // 000000007350: D101002E 0001E52E
	v_add_f32_e64 v47, v47, 1.0                                // 000000007358: D101002F 0001E52F
	v_rcp_f32_e32 v44, v44                                     // 000000007360: 7E58452C
	v_rcp_f32_e32 v45, v45                                     // 000000007364: 7E5A452D
	v_rcp_f32_e32 v46, v46                                     // 000000007368: 7E5C452E
	v_rcp_f32_e32 v47, v47                                     // 00000000736C: 7E5E452F
	v_pk_mul_f32 v[152:153], v[152:153], v[44:45]              // 000000007370: D3B14098 18025998
	v_pk_mul_f32 v[154:155], v[154:155], v[46:47]              // 000000007378: D3B1409A 18025D9A
	v_pk_mul_f32 v[152:153], v[152:153], v[88:89]              // 000000007380: D3B14098 1802B198
	v_pk_mul_f32 v[154:155], v[154:155], v[90:91]              // 000000007388: D3B1409A 1802B59A
	buffer_load_dwordx4 a[56:59], v50, s[12:15], 0 offen       // 000000007390: E05C1000 80833832
	v_mul_f32_e32 v44, v156, v156                              // 000000007398: 0A59399C
	v_mul_f32_e32 v45, v157, v157                              // 00000000739C: 0A5B3B9D
	v_mul_f32_e32 v46, v158, v158                              // 0000000073A0: 0A5D3D9E
	v_mul_f32_e32 v47, v159, v159                              // 0000000073A4: 0A5F3F9F
	v_fma_f32 v44, v44, s3, v56                                // 0000000073A8: D1CB002C 04E0072C
	v_fma_f32 v45, v45, s3, v56                                // 0000000073B0: D1CB002D 04E0072D
	v_fma_f32 v46, v46, s3, v56                                // 0000000073B8: D1CB002E 04E0072E
	v_fma_f32 v47, v47, s3, v56                                // 0000000073C0: D1CB002F 04E0072F
	v_mul_f32_e32 v44, v44, v156                               // 0000000073C8: 0A59392C
	v_mul_f32_e32 v45, v45, v157                               // 0000000073CC: 0A5B3B2D
	v_mul_f32_e32 v46, v46, v158                               // 0000000073D0: 0A5D3D2E
	v_mul_f32_e32 v47, v47, v159                               // 0000000073D4: 0A5F3F2F
	v_mul_f32_e64 v44, v44, s6                                 // 0000000073D8: D105002C 00000D2C
	v_mul_f32_e64 v45, v45, s6                                 // 0000000073E0: D105002D 00000D2D
	v_mul_f32_e64 v46, v46, s6                                 // 0000000073E8: D105002E 00000D2E
	v_mul_f32_e64 v47, v47, s6                                 // 0000000073F0: D105002F 00000D2F
	v_exp_f32_e32 v44, v44                                     // 0000000073F8: 7E58412C
	v_exp_f32_e32 v45, v45                                     // 0000000073FC: 7E5A412D
	v_exp_f32_e32 v46, v46                                     // 000000007400: 7E5C412E
	v_exp_f32_e32 v47, v47                                     // 000000007404: 7E5E412F
	buffer_load_dwordx4 a[60:63], v51, s[12:15], 0 offen       // 000000007408: E05C1000 80833C33
	s_add_u32 s12, s78, s12                                    // 000000007410: 800C0C4E
	s_addc_u32 s13, 0, s13                                     // 000000007414: 820D0D80
	v_add_f32_e64 v44, v44, 1.0                                // 000000007418: D101002C 0001E52C
	v_add_f32_e64 v45, v45, 1.0                                // 000000007420: D101002D 0001E52D
	v_add_f32_e64 v46, v46, 1.0                                // 000000007428: D101002E 0001E52E
	v_add_f32_e64 v47, v47, 1.0                                // 000000007430: D101002F 0001E52F
	v_rcp_f32_e32 v44, v44                                     // 000000007438: 7E58452C
	v_rcp_f32_e32 v45, v45                                     // 00000000743C: 7E5A452D
	v_rcp_f32_e32 v46, v46                                     // 000000007440: 7E5C452E
	v_rcp_f32_e32 v47, v47                                     // 000000007444: 7E5E452F
	v_pk_mul_f32 v[156:157], v[156:157], v[44:45]              // 000000007448: D3B1409C 1802599C
	v_pk_mul_f32 v[158:159], v[158:159], v[46:47]              // 000000007450: D3B1409E 18025D9E
	v_pk_mul_f32 v[156:157], v[156:157], v[92:93]              // 000000007458: D3B1409C 1802B99C
	v_pk_mul_f32 v[158:159], v[158:159], v[94:95]              // 000000007460: D3B1409E 1802BD9E
	s_waitcnt vmcnt(28)                                        // 000000007468: BF8C4F7C
	buffer_load_dwordx4 a[64:67], v48, s[12:15], 0 offen       // 00000000746C: E05C1000 80834030
	v_mul_f32_e32 v44, v160, v160                              // 000000007474: 0A5941A0
	v_mul_f32_e32 v45, v161, v161                              // 000000007478: 0A5B43A1
	v_mul_f32_e32 v46, v162, v162                              // 00000000747C: 0A5D45A2
	v_mul_f32_e32 v47, v163, v163                              // 000000007480: 0A5F47A3
	v_fma_f32 v44, v44, s3, v56                                // 000000007484: D1CB002C 04E0072C
	v_fma_f32 v45, v45, s3, v56                                // 00000000748C: D1CB002D 04E0072D
	v_fma_f32 v46, v46, s3, v56                                // 000000007494: D1CB002E 04E0072E
	v_fma_f32 v47, v47, s3, v56                                // 00000000749C: D1CB002F 04E0072F
	v_mul_f32_e32 v44, v44, v160                               // 0000000074A4: 0A59412C
	v_mul_f32_e32 v45, v45, v161                               // 0000000074A8: 0A5B432D
	v_mul_f32_e32 v46, v46, v162                               // 0000000074AC: 0A5D452E
	v_mul_f32_e32 v47, v47, v163                               // 0000000074B0: 0A5F472F
	v_mul_f32_e64 v44, v44, s6                                 // 0000000074B4: D105002C 00000D2C
	v_mul_f32_e64 v45, v45, s6                                 // 0000000074BC: D105002D 00000D2D
	v_mul_f32_e64 v46, v46, s6                                 // 0000000074C4: D105002E 00000D2E
	v_mul_f32_e64 v47, v47, s6                                 // 0000000074CC: D105002F 00000D2F
	v_exp_f32_e32 v44, v44                                     // 0000000074D4: 7E58412C
	v_exp_f32_e32 v45, v45                                     // 0000000074D8: 7E5A412D
	v_exp_f32_e32 v46, v46                                     // 0000000074DC: 7E5C412E
	v_exp_f32_e32 v47, v47                                     // 0000000074E0: 7E5E412F
	buffer_load_dwordx4 a[68:71], v49, s[12:15], 0 offen       // 0000000074E4: E05C1000 80834431
	v_add_f32_e64 v44, v44, 1.0                                // 0000000074EC: D101002C 0001E52C
	v_add_f32_e64 v45, v45, 1.0                                // 0000000074F4: D101002D 0001E52D
	v_add_f32_e64 v46, v46, 1.0                                // 0000000074FC: D101002E 0001E52E
	v_add_f32_e64 v47, v47, 1.0                                // 000000007504: D101002F 0001E52F
	v_rcp_f32_e32 v44, v44                                     // 00000000750C: 7E58452C
	v_rcp_f32_e32 v45, v45                                     // 000000007510: 7E5A452D
	v_rcp_f32_e32 v46, v46                                     // 000000007514: 7E5C452E
	v_rcp_f32_e32 v47, v47                                     // 000000007518: 7E5E452F
	v_pk_mul_f32 v[160:161], v[160:161], v[44:45]              // 00000000751C: D3B140A0 180259A0
	v_pk_mul_f32 v[162:163], v[162:163], v[46:47]              // 000000007524: D3B140A2 18025DA2
	v_pk_mul_f32 v[160:161], v[160:161], v[96:97]              // 00000000752C: D3B140A0 1802C1A0
	v_pk_mul_f32 v[162:163], v[162:163], v[98:99]              // 000000007534: D3B140A2 1802C5A2
	buffer_load_dwordx4 a[72:75], v50, s[12:15], 0 offen       // 00000000753C: E05C1000 80834832
	v_mul_f32_e32 v44, v164, v164                              // 000000007544: 0A5949A4
	v_mul_f32_e32 v45, v165, v165                              // 000000007548: 0A5B4BA5
	v_mul_f32_e32 v46, v166, v166                              // 00000000754C: 0A5D4DA6
	v_mul_f32_e32 v47, v167, v167                              // 000000007550: 0A5F4FA7
	v_fma_f32 v44, v44, s3, v56                                // 000000007554: D1CB002C 04E0072C
	v_fma_f32 v45, v45, s3, v56                                // 00000000755C: D1CB002D 04E0072D
	v_fma_f32 v46, v46, s3, v56                                // 000000007564: D1CB002E 04E0072E
	v_fma_f32 v47, v47, s3, v56                                // 00000000756C: D1CB002F 04E0072F
	v_mul_f32_e32 v44, v44, v164                               // 000000007574: 0A59492C
	v_mul_f32_e32 v45, v45, v165                               // 000000007578: 0A5B4B2D
	v_mul_f32_e32 v46, v46, v166                               // 00000000757C: 0A5D4D2E
	v_mul_f32_e32 v47, v47, v167                               // 000000007580: 0A5F4F2F
	v_mul_f32_e64 v44, v44, s6                                 // 000000007584: D105002C 00000D2C
	v_mul_f32_e64 v45, v45, s6                                 // 00000000758C: D105002D 00000D2D
	v_mul_f32_e64 v46, v46, s6                                 // 000000007594: D105002E 00000D2E
	v_mul_f32_e64 v47, v47, s6                                 // 00000000759C: D105002F 00000D2F
	v_exp_f32_e32 v44, v44                                     // 0000000075A4: 7E58412C
	v_exp_f32_e32 v45, v45                                     // 0000000075A8: 7E5A412D
	v_exp_f32_e32 v46, v46                                     // 0000000075AC: 7E5C412E
	v_exp_f32_e32 v47, v47                                     // 0000000075B0: 7E5E412F
	buffer_load_dwordx4 a[76:79], v51, s[12:15], 0 offen       // 0000000075B4: E05C1000 80834C33
	s_add_u32 s12, s78, s12                                    // 0000000075BC: 800C0C4E
	s_addc_u32 s13, 0, s13                                     // 0000000075C0: 820D0D80
	v_add_f32_e64 v44, v44, 1.0                                // 0000000075C4: D101002C 0001E52C
	v_add_f32_e64 v45, v45, 1.0                                // 0000000075CC: D101002D 0001E52D
	v_add_f32_e64 v46, v46, 1.0                                // 0000000075D4: D101002E 0001E52E
	v_add_f32_e64 v47, v47, 1.0                                // 0000000075DC: D101002F 0001E52F
	v_rcp_f32_e32 v44, v44                                     // 0000000075E4: 7E58452C
	v_rcp_f32_e32 v45, v45                                     // 0000000075E8: 7E5A452D
	v_rcp_f32_e32 v46, v46                                     // 0000000075EC: 7E5C452E
	v_rcp_f32_e32 v47, v47                                     // 0000000075F0: 7E5E452F
	v_pk_mul_f32 v[164:165], v[164:165], v[44:45]              // 0000000075F4: D3B140A4 180259A4
	v_pk_mul_f32 v[166:167], v[166:167], v[46:47]              // 0000000075FC: D3B140A6 18025DA6
	v_pk_mul_f32 v[164:165], v[164:165], v[100:101]            // 000000007604: D3B140A4 1802C9A4
	v_pk_mul_f32 v[166:167], v[166:167], v[102:103]            // 00000000760C: D3B140A6 1802CDA6
	s_waitcnt vmcnt(28)                                        // 000000007614: BF8C4F7C
	buffer_load_dwordx4 a[80:83], v48, s[12:15], 0 offen       // 000000007618: E05C1000 80835030
	v_mul_f32_e32 v44, v168, v168                              // 000000007620: 0A5951A8
	v_mul_f32_e32 v45, v169, v169                              // 000000007624: 0A5B53A9
	v_mul_f32_e32 v46, v170, v170                              // 000000007628: 0A5D55AA
	v_mul_f32_e32 v47, v171, v171                              // 00000000762C: 0A5F57AB
	v_fma_f32 v44, v44, s3, v56                                // 000000007630: D1CB002C 04E0072C
	v_fma_f32 v45, v45, s3, v56                                // 000000007638: D1CB002D 04E0072D
	v_fma_f32 v46, v46, s3, v56                                // 000000007640: D1CB002E 04E0072E
	v_fma_f32 v47, v47, s3, v56                                // 000000007648: D1CB002F 04E0072F
	v_mul_f32_e32 v44, v44, v168                               // 000000007650: 0A59512C
	v_mul_f32_e32 v45, v45, v169                               // 000000007654: 0A5B532D
	v_mul_f32_e32 v46, v46, v170                               // 000000007658: 0A5D552E
	v_mul_f32_e32 v47, v47, v171                               // 00000000765C: 0A5F572F
	v_mul_f32_e64 v44, v44, s6                                 // 000000007660: D105002C 00000D2C
	v_mul_f32_e64 v45, v45, s6                                 // 000000007668: D105002D 00000D2D
	v_mul_f32_e64 v46, v46, s6                                 // 000000007670: D105002E 00000D2E
	v_mul_f32_e64 v47, v47, s6                                 // 000000007678: D105002F 00000D2F
	v_exp_f32_e32 v44, v44                                     // 000000007680: 7E58412C
	v_exp_f32_e32 v45, v45                                     // 000000007684: 7E5A412D
	v_exp_f32_e32 v46, v46                                     // 000000007688: 7E5C412E
	v_exp_f32_e32 v47, v47                                     // 00000000768C: 7E5E412F
	buffer_load_dwordx4 a[84:87], v49, s[12:15], 0 offen       // 000000007690: E05C1000 80835431
	v_add_f32_e64 v44, v44, 1.0                                // 000000007698: D101002C 0001E52C
	v_add_f32_e64 v45, v45, 1.0                                // 0000000076A0: D101002D 0001E52D
	v_add_f32_e64 v46, v46, 1.0                                // 0000000076A8: D101002E 0001E52E
	v_add_f32_e64 v47, v47, 1.0                                // 0000000076B0: D101002F 0001E52F
	v_rcp_f32_e32 v44, v44                                     // 0000000076B8: 7E58452C
	v_rcp_f32_e32 v45, v45                                     // 0000000076BC: 7E5A452D
	v_rcp_f32_e32 v46, v46                                     // 0000000076C0: 7E5C452E
	v_rcp_f32_e32 v47, v47                                     // 0000000076C4: 7E5E452F
	v_pk_mul_f32 v[168:169], v[168:169], v[44:45]              // 0000000076C8: D3B140A8 180259A8
	v_pk_mul_f32 v[170:171], v[170:171], v[46:47]              // 0000000076D0: D3B140AA 18025DAA
	v_pk_mul_f32 v[168:169], v[168:169], v[104:105]            // 0000000076D8: D3B140A8 1802D1A8
	v_pk_mul_f32 v[170:171], v[170:171], v[106:107]            // 0000000076E0: D3B140AA 1802D5AA
	buffer_load_dwordx4 a[88:91], v50, s[12:15], 0 offen       // 0000000076E8: E05C1000 80835832
	v_mul_f32_e32 v44, v172, v172                              // 0000000076F0: 0A5959AC
	v_mul_f32_e32 v45, v173, v173                              // 0000000076F4: 0A5B5BAD
	v_mul_f32_e32 v46, v174, v174                              // 0000000076F8: 0A5D5DAE
	v_mul_f32_e32 v47, v175, v175                              // 0000000076FC: 0A5F5FAF
	v_fma_f32 v44, v44, s3, v56                                // 000000007700: D1CB002C 04E0072C
	v_fma_f32 v45, v45, s3, v56                                // 000000007708: D1CB002D 04E0072D
	v_fma_f32 v46, v46, s3, v56                                // 000000007710: D1CB002E 04E0072E
	v_fma_f32 v47, v47, s3, v56                                // 000000007718: D1CB002F 04E0072F
	v_mul_f32_e32 v44, v44, v172                               // 000000007720: 0A59592C
	v_mul_f32_e32 v45, v45, v173                               // 000000007724: 0A5B5B2D
	v_mul_f32_e32 v46, v46, v174                               // 000000007728: 0A5D5D2E
	v_mul_f32_e32 v47, v47, v175                               // 00000000772C: 0A5F5F2F
	v_mul_f32_e64 v44, v44, s6                                 // 000000007730: D105002C 00000D2C
	v_mul_f32_e64 v45, v45, s6                                 // 000000007738: D105002D 00000D2D
	v_mul_f32_e64 v46, v46, s6                                 // 000000007740: D105002E 00000D2E
	v_mul_f32_e64 v47, v47, s6                                 // 000000007748: D105002F 00000D2F
	v_exp_f32_e32 v44, v44                                     // 000000007750: 7E58412C
	v_exp_f32_e32 v45, v45                                     // 000000007754: 7E5A412D
	v_exp_f32_e32 v46, v46                                     // 000000007758: 7E5C412E
	v_exp_f32_e32 v47, v47                                     // 00000000775C: 7E5E412F
	buffer_load_dwordx4 a[92:95], v51, s[12:15], 0 offen       // 000000007760: E05C1000 80835C33
	s_add_u32 s12, s78, s12                                    // 000000007768: 800C0C4E
	s_addc_u32 s13, 0, s13                                     // 00000000776C: 820D0D80
	v_add_f32_e64 v44, v44, 1.0                                // 000000007770: D101002C 0001E52C
	v_add_f32_e64 v45, v45, 1.0                                // 000000007778: D101002D 0001E52D
	v_add_f32_e64 v46, v46, 1.0                                // 000000007780: D101002E 0001E52E
	v_add_f32_e64 v47, v47, 1.0                                // 000000007788: D101002F 0001E52F
	v_rcp_f32_e32 v44, v44                                     // 000000007790: 7E58452C
	v_rcp_f32_e32 v45, v45                                     // 000000007794: 7E5A452D
	v_rcp_f32_e32 v46, v46                                     // 000000007798: 7E5C452E
	v_rcp_f32_e32 v47, v47                                     // 00000000779C: 7E5E452F
	v_pk_mul_f32 v[172:173], v[172:173], v[44:45]              // 0000000077A0: D3B140AC 180259AC
	v_pk_mul_f32 v[174:175], v[174:175], v[46:47]              // 0000000077A8: D3B140AE 18025DAE
	v_pk_mul_f32 v[172:173], v[172:173], v[108:109]            // 0000000077B0: D3B140AC 1802D9AC
	v_pk_mul_f32 v[174:175], v[174:175], v[110:111]            // 0000000077B8: D3B140AE 1802DDAE
	s_waitcnt vmcnt(28)                                        // 0000000077C0: BF8C4F7C
	buffer_load_dwordx4 a[96:99], v48, s[12:15], 0 offen       // 0000000077C4: E05C1000 80836030
	v_mul_f32_e32 v44, v176, v176                              // 0000000077CC: 0A5961B0
	v_mul_f32_e32 v45, v177, v177                              // 0000000077D0: 0A5B63B1
	v_mul_f32_e32 v46, v178, v178                              // 0000000077D4: 0A5D65B2
	v_mul_f32_e32 v47, v179, v179                              // 0000000077D8: 0A5F67B3
	v_fma_f32 v44, v44, s3, v56                                // 0000000077DC: D1CB002C 04E0072C
	v_fma_f32 v45, v45, s3, v56                                // 0000000077E4: D1CB002D 04E0072D
	v_fma_f32 v46, v46, s3, v56                                // 0000000077EC: D1CB002E 04E0072E
	v_fma_f32 v47, v47, s3, v56                                // 0000000077F4: D1CB002F 04E0072F
	v_mul_f32_e32 v44, v44, v176                               // 0000000077FC: 0A59612C
	v_mul_f32_e32 v45, v45, v177                               // 000000007800: 0A5B632D
	v_mul_f32_e32 v46, v46, v178                               // 000000007804: 0A5D652E
	v_mul_f32_e32 v47, v47, v179                               // 000000007808: 0A5F672F
	v_mul_f32_e64 v44, v44, s6                                 // 00000000780C: D105002C 00000D2C
	v_mul_f32_e64 v45, v45, s6                                 // 000000007814: D105002D 00000D2D
	v_mul_f32_e64 v46, v46, s6                                 // 00000000781C: D105002E 00000D2E
	v_mul_f32_e64 v47, v47, s6                                 // 000000007824: D105002F 00000D2F
	v_exp_f32_e32 v44, v44                                     // 00000000782C: 7E58412C
	v_exp_f32_e32 v45, v45                                     // 000000007830: 7E5A412D
	v_exp_f32_e32 v46, v46                                     // 000000007834: 7E5C412E
	v_exp_f32_e32 v47, v47                                     // 000000007838: 7E5E412F
	buffer_load_dwordx4 a[100:103], v49, s[12:15], 0 offen     // 00000000783C: E05C1000 80836431
	v_add_f32_e64 v44, v44, 1.0                                // 000000007844: D101002C 0001E52C
	v_add_f32_e64 v45, v45, 1.0                                // 00000000784C: D101002D 0001E52D
	v_add_f32_e64 v46, v46, 1.0                                // 000000007854: D101002E 0001E52E
	v_add_f32_e64 v47, v47, 1.0                                // 00000000785C: D101002F 0001E52F
	v_rcp_f32_e32 v44, v44                                     // 000000007864: 7E58452C
	v_rcp_f32_e32 v45, v45                                     // 000000007868: 7E5A452D
	v_rcp_f32_e32 v46, v46                                     // 00000000786C: 7E5C452E
	v_rcp_f32_e32 v47, v47                                     // 000000007870: 7E5E452F
	v_pk_mul_f32 v[176:177], v[176:177], v[44:45]              // 000000007874: D3B140B0 180259B0
	v_pk_mul_f32 v[178:179], v[178:179], v[46:47]              // 00000000787C: D3B140B2 18025DB2
	v_pk_mul_f32 v[176:177], v[176:177], v[112:113]            // 000000007884: D3B140B0 1802E1B0
	v_pk_mul_f32 v[178:179], v[178:179], v[114:115]            // 00000000788C: D3B140B2 1802E5B2
	buffer_load_dwordx4 a[104:107], v50, s[12:15], 0 offen     // 000000007894: E05C1000 80836832
	v_mul_f32_e32 v44, v180, v180                              // 00000000789C: 0A5969B4
	v_mul_f32_e32 v45, v181, v181                              // 0000000078A0: 0A5B6BB5
	v_mul_f32_e32 v46, v182, v182                              // 0000000078A4: 0A5D6DB6
	v_mul_f32_e32 v47, v183, v183                              // 0000000078A8: 0A5F6FB7
	v_fma_f32 v44, v44, s3, v56                                // 0000000078AC: D1CB002C 04E0072C
	v_fma_f32 v45, v45, s3, v56                                // 0000000078B4: D1CB002D 04E0072D
	v_fma_f32 v46, v46, s3, v56                                // 0000000078BC: D1CB002E 04E0072E
	v_fma_f32 v47, v47, s3, v56                                // 0000000078C4: D1CB002F 04E0072F
	v_mul_f32_e32 v44, v44, v180                               // 0000000078CC: 0A59692C
	v_mul_f32_e32 v45, v45, v181                               // 0000000078D0: 0A5B6B2D
	v_mul_f32_e32 v46, v46, v182                               // 0000000078D4: 0A5D6D2E
	v_mul_f32_e32 v47, v47, v183                               // 0000000078D8: 0A5F6F2F
	v_mul_f32_e64 v44, v44, s6                                 // 0000000078DC: D105002C 00000D2C
	v_mul_f32_e64 v45, v45, s6                                 // 0000000078E4: D105002D 00000D2D
	v_mul_f32_e64 v46, v46, s6                                 // 0000000078EC: D105002E 00000D2E
	v_mul_f32_e64 v47, v47, s6                                 // 0000000078F4: D105002F 00000D2F
	v_exp_f32_e32 v44, v44                                     // 0000000078FC: 7E58412C
	v_exp_f32_e32 v45, v45                                     // 000000007900: 7E5A412D
	v_exp_f32_e32 v46, v46                                     // 000000007904: 7E5C412E
	v_exp_f32_e32 v47, v47                                     // 000000007908: 7E5E412F
	buffer_load_dwordx4 a[108:111], v51, s[12:15], 0 offen     // 00000000790C: E05C1000 80836C33
	s_add_u32 s12, s78, s12                                    // 000000007914: 800C0C4E
	s_addc_u32 s13, 0, s13                                     // 000000007918: 820D0D80
	v_add_f32_e64 v44, v44, 1.0                                // 00000000791C: D101002C 0001E52C
	v_add_f32_e64 v45, v45, 1.0                                // 000000007924: D101002D 0001E52D
	v_add_f32_e64 v46, v46, 1.0                                // 00000000792C: D101002E 0001E52E
	v_add_f32_e64 v47, v47, 1.0                                // 000000007934: D101002F 0001E52F
	v_rcp_f32_e32 v44, v44                                     // 00000000793C: 7E58452C
	v_rcp_f32_e32 v45, v45                                     // 000000007940: 7E5A452D
	v_rcp_f32_e32 v46, v46                                     // 000000007944: 7E5C452E
	v_rcp_f32_e32 v47, v47                                     // 000000007948: 7E5E452F
	v_pk_mul_f32 v[180:181], v[180:181], v[44:45]              // 00000000794C: D3B140B4 180259B4
	v_pk_mul_f32 v[182:183], v[182:183], v[46:47]              // 000000007954: D3B140B6 18025DB6
	v_pk_mul_f32 v[180:181], v[180:181], v[116:117]            // 00000000795C: D3B140B4 1802E9B4
	v_pk_mul_f32 v[182:183], v[182:183], v[118:119]            // 000000007964: D3B140B6 1802EDB6
	s_waitcnt vmcnt(28)                                        // 00000000796C: BF8C4F7C
	buffer_load_dwordx4 a[112:115], v48, s[12:15], 0 offen     // 000000007970: E05C1000 80837030
	v_mul_f32_e32 v44, v184, v184                              // 000000007978: 0A5971B8
	v_mul_f32_e32 v45, v185, v185                              // 00000000797C: 0A5B73B9
	v_mul_f32_e32 v46, v186, v186                              // 000000007980: 0A5D75BA
	v_mul_f32_e32 v47, v187, v187                              // 000000007984: 0A5F77BB
	v_fma_f32 v44, v44, s3, v56                                // 000000007988: D1CB002C 04E0072C
	v_fma_f32 v45, v45, s3, v56                                // 000000007990: D1CB002D 04E0072D
	v_fma_f32 v46, v46, s3, v56                                // 000000007998: D1CB002E 04E0072E
	v_fma_f32 v47, v47, s3, v56                                // 0000000079A0: D1CB002F 04E0072F
	v_mul_f32_e32 v44, v44, v184                               // 0000000079A8: 0A59712C
	v_mul_f32_e32 v45, v45, v185                               // 0000000079AC: 0A5B732D
	v_mul_f32_e32 v46, v46, v186                               // 0000000079B0: 0A5D752E
	v_mul_f32_e32 v47, v47, v187                               // 0000000079B4: 0A5F772F
	v_mul_f32_e64 v44, v44, s6                                 // 0000000079B8: D105002C 00000D2C
	v_mul_f32_e64 v45, v45, s6                                 // 0000000079C0: D105002D 00000D2D
	v_mul_f32_e64 v46, v46, s6                                 // 0000000079C8: D105002E 00000D2E
	v_mul_f32_e64 v47, v47, s6                                 // 0000000079D0: D105002F 00000D2F
	v_exp_f32_e32 v44, v44                                     // 0000000079D8: 7E58412C
	v_exp_f32_e32 v45, v45                                     // 0000000079DC: 7E5A412D
	v_exp_f32_e32 v46, v46                                     // 0000000079E0: 7E5C412E
	v_exp_f32_e32 v47, v47                                     // 0000000079E4: 7E5E412F
	buffer_load_dwordx4 a[116:119], v49, s[12:15], 0 offen     // 0000000079E8: E05C1000 80837431
	v_add_f32_e64 v44, v44, 1.0                                // 0000000079F0: D101002C 0001E52C
	v_add_f32_e64 v45, v45, 1.0                                // 0000000079F8: D101002D 0001E52D
	v_add_f32_e64 v46, v46, 1.0                                // 000000007A00: D101002E 0001E52E
	v_add_f32_e64 v47, v47, 1.0                                // 000000007A08: D101002F 0001E52F
	v_rcp_f32_e32 v44, v44                                     // 000000007A10: 7E58452C
	v_rcp_f32_e32 v45, v45                                     // 000000007A14: 7E5A452D
	v_rcp_f32_e32 v46, v46                                     // 000000007A18: 7E5C452E
	v_rcp_f32_e32 v47, v47                                     // 000000007A1C: 7E5E452F
	v_pk_mul_f32 v[184:185], v[184:185], v[44:45]              // 000000007A20: D3B140B8 180259B8
	v_pk_mul_f32 v[186:187], v[186:187], v[46:47]              // 000000007A28: D3B140BA 18025DBA
	v_pk_mul_f32 v[184:185], v[184:185], v[120:121]            // 000000007A30: D3B140B8 1802F1B8
	v_pk_mul_f32 v[186:187], v[186:187], v[122:123]            // 000000007A38: D3B140BA 1802F5BA
	buffer_load_dwordx4 a[120:123], v50, s[12:15], 0 offen     // 000000007A40: E05C1000 80837832
	v_mul_f32_e32 v44, v188, v188                              // 000000007A48: 0A5979BC
	v_mul_f32_e32 v45, v189, v189                              // 000000007A4C: 0A5B7BBD
	v_mul_f32_e32 v46, v190, v190                              // 000000007A50: 0A5D7DBE
	v_mul_f32_e32 v47, v191, v191                              // 000000007A54: 0A5F7FBF
	v_fma_f32 v44, v44, s3, v56                                // 000000007A58: D1CB002C 04E0072C
	v_fma_f32 v45, v45, s3, v56                                // 000000007A60: D1CB002D 04E0072D
	v_fma_f32 v46, v46, s3, v56                                // 000000007A68: D1CB002E 04E0072E
	v_fma_f32 v47, v47, s3, v56                                // 000000007A70: D1CB002F 04E0072F
	v_mul_f32_e32 v44, v44, v188                               // 000000007A78: 0A59792C
	v_mul_f32_e32 v45, v45, v189                               // 000000007A7C: 0A5B7B2D
	v_mul_f32_e32 v46, v46, v190                               // 000000007A80: 0A5D7D2E
	v_mul_f32_e32 v47, v47, v191                               // 000000007A84: 0A5F7F2F
	v_mul_f32_e64 v44, v44, s6                                 // 000000007A88: D105002C 00000D2C
	v_mul_f32_e64 v45, v45, s6                                 // 000000007A90: D105002D 00000D2D
	v_mul_f32_e64 v46, v46, s6                                 // 000000007A98: D105002E 00000D2E
	v_mul_f32_e64 v47, v47, s6                                 // 000000007AA0: D105002F 00000D2F
	v_exp_f32_e32 v44, v44                                     // 000000007AA8: 7E58412C
	v_exp_f32_e32 v45, v45                                     // 000000007AAC: 7E5A412D
	v_exp_f32_e32 v46, v46                                     // 000000007AB0: 7E5C412E
	v_exp_f32_e32 v47, v47                                     // 000000007AB4: 7E5E412F
	buffer_load_dwordx4 a[124:127], v51, s[12:15], 0 offen     // 000000007AB8: E05C1000 80837C33
	v_add_f32_e64 v44, v44, 1.0                                // 000000007AC0: D101002C 0001E52C
	v_add_f32_e64 v45, v45, 1.0                                // 000000007AC8: D101002D 0001E52D
	v_add_f32_e64 v46, v46, 1.0                                // 000000007AD0: D101002E 0001E52E
	v_add_f32_e64 v47, v47, 1.0                                // 000000007AD8: D101002F 0001E52F
	v_rcp_f32_e32 v44, v44                                     // 000000007AE0: 7E58452C
	v_rcp_f32_e32 v45, v45                                     // 000000007AE4: 7E5A452D
	v_rcp_f32_e32 v46, v46                                     // 000000007AE8: 7E5C452E
	v_rcp_f32_e32 v47, v47                                     // 000000007AEC: 7E5E452F
	v_pk_mul_f32 v[188:189], v[188:189], v[44:45]              // 000000007AF0: D3B140BC 180259BC
	v_pk_mul_f32 v[190:191], v[190:191], v[46:47]              // 000000007AF8: D3B140BE 18025DBE
	v_pk_mul_f32 v[188:189], v[188:189], v[124:125]            // 000000007B00: D3B140BC 1802F9BC
	v_pk_mul_f32 v[190:191], v[190:191], v[126:127]            // 000000007B08: D3B140BE 1802FDBE
	v_mul_f32_dpp v128, v18, v128 row_newbcast:0 row_mask:0xf bank_mask:0xf// 000000007B10: 0B0100FA FF015012
	v_mul_f32_dpp v129, v18, v129 row_newbcast:1 row_mask:0xf bank_mask:0xf// 000000007B18: 0B0302FA FF015112
	v_mul_f32_dpp v130, v18, v130 row_newbcast:2 row_mask:0xf bank_mask:0xf// 000000007B20: 0B0504FA FF015212
	v_mul_f32_dpp v131, v18, v131 row_newbcast:3 row_mask:0xf bank_mask:0xf// 000000007B28: 0B0706FA FF015312
	v_mul_f32_dpp v132, v18, v132 row_newbcast:0 row_mask:0xf bank_mask:0xf// 000000007B30: 0B0908FA FF015012
	v_mul_f32_dpp v133, v18, v133 row_newbcast:1 row_mask:0xf bank_mask:0xf// 000000007B38: 0B0B0AFA FF015112
	v_mul_f32_dpp v134, v18, v134 row_newbcast:2 row_mask:0xf bank_mask:0xf// 000000007B40: 0B0D0CFA FF015212
	v_mul_f32_dpp v135, v18, v135 row_newbcast:3 row_mask:0xf bank_mask:0xf// 000000007B48: 0B0F0EFA FF015312
	v_mul_f32_dpp v136, v18, v136 row_newbcast:4 row_mask:0xf bank_mask:0xf// 000000007B50: 0B1110FA FF015412
	v_mul_f32_dpp v137, v18, v137 row_newbcast:5 row_mask:0xf bank_mask:0xf// 000000007B58: 0B1312FA FF015512
	v_mul_f32_dpp v138, v18, v138 row_newbcast:6 row_mask:0xf bank_mask:0xf// 000000007B60: 0B1514FA FF015612
	v_mul_f32_dpp v139, v18, v139 row_newbcast:7 row_mask:0xf bank_mask:0xf// 000000007B68: 0B1716FA FF015712
	v_mul_f32_dpp v140, v18, v140 row_newbcast:4 row_mask:0xf bank_mask:0xf// 000000007B70: 0B1918FA FF015412
	v_mul_f32_dpp v141, v18, v141 row_newbcast:5 row_mask:0xf bank_mask:0xf// 000000007B78: 0B1B1AFA FF015512
	v_mul_f32_dpp v142, v18, v142 row_newbcast:6 row_mask:0xf bank_mask:0xf// 000000007B80: 0B1D1CFA FF015612
	v_mul_f32_dpp v143, v18, v143 row_newbcast:7 row_mask:0xf bank_mask:0xf// 000000007B88: 0B1F1EFA FF015712
	v_mul_f32_dpp v144, v18, v144 row_newbcast:8 row_mask:0xf bank_mask:0xf// 000000007B90: 0B2120FA FF015812
	v_mul_f32_dpp v145, v18, v145 row_newbcast:9 row_mask:0xf bank_mask:0xf// 000000007B98: 0B2322FA FF015912
	v_mul_f32_dpp v146, v18, v146 row_newbcast:10 row_mask:0xf bank_mask:0xf// 000000007BA0: 0B2524FA FF015A12
	v_mul_f32_dpp v147, v18, v147 row_newbcast:11 row_mask:0xf bank_mask:0xf// 000000007BA8: 0B2726FA FF015B12
	v_mul_f32_dpp v148, v18, v148 row_newbcast:8 row_mask:0xf bank_mask:0xf// 000000007BB0: 0B2928FA FF015812
	v_mul_f32_dpp v149, v18, v149 row_newbcast:9 row_mask:0xf bank_mask:0xf// 000000007BB8: 0B2B2AFA FF015912
	v_mul_f32_dpp v150, v18, v150 row_newbcast:10 row_mask:0xf bank_mask:0xf// 000000007BC0: 0B2D2CFA FF015A12
	v_mul_f32_dpp v151, v18, v151 row_newbcast:11 row_mask:0xf bank_mask:0xf// 000000007BC8: 0B2F2EFA FF015B12
	v_mul_f32_dpp v152, v18, v152 row_newbcast:12 row_mask:0xf bank_mask:0xf// 000000007BD0: 0B3130FA FF015C12
	v_mul_f32_dpp v153, v18, v153 row_newbcast:13 row_mask:0xf bank_mask:0xf// 000000007BD8: 0B3332FA FF015D12
	v_mul_f32_dpp v154, v18, v154 row_newbcast:14 row_mask:0xf bank_mask:0xf// 000000007BE0: 0B3534FA FF015E12
	v_mul_f32_dpp v155, v18, v155 row_newbcast:15 row_mask:0xf bank_mask:0xf// 000000007BE8: 0B3736FA FF015F12
	v_mul_f32_dpp v156, v18, v156 row_newbcast:12 row_mask:0xf bank_mask:0xf// 000000007BF0: 0B3938FA FF015C12
	v_mul_f32_dpp v157, v18, v157 row_newbcast:13 row_mask:0xf bank_mask:0xf// 000000007BF8: 0B3B3AFA FF015D12
	v_mul_f32_dpp v158, v18, v158 row_newbcast:14 row_mask:0xf bank_mask:0xf// 000000007C00: 0B3D3CFA FF015E12
	v_mul_f32_dpp v159, v18, v159 row_newbcast:15 row_mask:0xf bank_mask:0xf// 000000007C08: 0B3F3EFA FF015F12
	v_mul_f32_dpp v160, v19, v160 row_newbcast:0 row_mask:0xf bank_mask:0xf// 000000007C10: 0B4140FA FF015013
	v_mul_f32_dpp v161, v19, v161 row_newbcast:1 row_mask:0xf bank_mask:0xf// 000000007C18: 0B4342FA FF015113
	v_mul_f32_dpp v162, v19, v162 row_newbcast:2 row_mask:0xf bank_mask:0xf// 000000007C20: 0B4544FA FF015213
	v_mul_f32_dpp v163, v19, v163 row_newbcast:3 row_mask:0xf bank_mask:0xf// 000000007C28: 0B4746FA FF015313
	v_mul_f32_dpp v164, v19, v164 row_newbcast:0 row_mask:0xf bank_mask:0xf// 000000007C30: 0B4948FA FF015013
	v_mul_f32_dpp v165, v19, v165 row_newbcast:1 row_mask:0xf bank_mask:0xf// 000000007C38: 0B4B4AFA FF015113
	v_mul_f32_dpp v166, v19, v166 row_newbcast:2 row_mask:0xf bank_mask:0xf// 000000007C40: 0B4D4CFA FF015213
	v_mul_f32_dpp v167, v19, v167 row_newbcast:3 row_mask:0xf bank_mask:0xf// 000000007C48: 0B4F4EFA FF015313
	v_mul_f32_dpp v168, v19, v168 row_newbcast:4 row_mask:0xf bank_mask:0xf// 000000007C50: 0B5150FA FF015413
	v_mul_f32_dpp v169, v19, v169 row_newbcast:5 row_mask:0xf bank_mask:0xf// 000000007C58: 0B5352FA FF015513
	v_mul_f32_dpp v170, v19, v170 row_newbcast:6 row_mask:0xf bank_mask:0xf// 000000007C60: 0B5554FA FF015613
	v_mul_f32_dpp v171, v19, v171 row_newbcast:7 row_mask:0xf bank_mask:0xf// 000000007C68: 0B5756FA FF015713
	v_mul_f32_dpp v172, v19, v172 row_newbcast:4 row_mask:0xf bank_mask:0xf// 000000007C70: 0B5958FA FF015413
	v_mul_f32_dpp v173, v19, v173 row_newbcast:5 row_mask:0xf bank_mask:0xf// 000000007C78: 0B5B5AFA FF015513
	v_mul_f32_dpp v174, v19, v174 row_newbcast:6 row_mask:0xf bank_mask:0xf// 000000007C80: 0B5D5CFA FF015613
	v_mul_f32_dpp v175, v19, v175 row_newbcast:7 row_mask:0xf bank_mask:0xf// 000000007C88: 0B5F5EFA FF015713
	v_mul_f32_dpp v176, v19, v176 row_newbcast:8 row_mask:0xf bank_mask:0xf// 000000007C90: 0B6160FA FF015813
	v_mul_f32_dpp v177, v19, v177 row_newbcast:9 row_mask:0xf bank_mask:0xf// 000000007C98: 0B6362FA FF015913
	v_mul_f32_dpp v178, v19, v178 row_newbcast:10 row_mask:0xf bank_mask:0xf// 000000007CA0: 0B6564FA FF015A13
	v_mul_f32_dpp v179, v19, v179 row_newbcast:11 row_mask:0xf bank_mask:0xf// 000000007CA8: 0B6766FA FF015B13
	v_mul_f32_dpp v180, v19, v180 row_newbcast:8 row_mask:0xf bank_mask:0xf// 000000007CB0: 0B6968FA FF015813
	v_mul_f32_dpp v181, v19, v181 row_newbcast:9 row_mask:0xf bank_mask:0xf// 000000007CB8: 0B6B6AFA FF015913
	v_mul_f32_dpp v182, v19, v182 row_newbcast:10 row_mask:0xf bank_mask:0xf// 000000007CC0: 0B6D6CFA FF015A13
	v_mul_f32_dpp v183, v19, v183 row_newbcast:11 row_mask:0xf bank_mask:0xf// 000000007CC8: 0B6F6EFA FF015B13
	v_mul_f32_dpp v184, v19, v184 row_newbcast:12 row_mask:0xf bank_mask:0xf// 000000007CD0: 0B7170FA FF015C13
	v_mul_f32_dpp v185, v19, v185 row_newbcast:13 row_mask:0xf bank_mask:0xf// 000000007CD8: 0B7372FA FF015D13
	v_mul_f32_dpp v186, v19, v186 row_newbcast:14 row_mask:0xf bank_mask:0xf// 000000007CE0: 0B7574FA FF015E13
	v_mul_f32_dpp v187, v19, v187 row_newbcast:15 row_mask:0xf bank_mask:0xf// 000000007CE8: 0B7776FA FF015F13
	v_mul_f32_dpp v188, v19, v188 row_newbcast:12 row_mask:0xf bank_mask:0xf// 000000007CF0: 0B7978FA FF015C13
	v_mul_f32_dpp v189, v19, v189 row_newbcast:13 row_mask:0xf bank_mask:0xf// 000000007CF8: 0B7B7AFA FF015D13
	v_mul_f32_dpp v190, v19, v190 row_newbcast:14 row_mask:0xf bank_mask:0xf// 000000007D00: 0B7D7CFA FF015E13
	v_mul_f32_dpp v191, v19, v191 row_newbcast:15 row_mask:0xf bank_mask:0xf// 000000007D08: 0B7F7EFA FF015F13
	v_lshlrev_b32_e32 v44, 2, v0                               // 000000007D10: 24580082
	s_mul_i32 s60, s82, s71                                    // 000000007D14: 923C4752
	v_add_u32_e64 v80, v44, s60                                // 000000007D18: D1340050 0000792C
	v_mov_b32_e32 v81, 0                                       // 000000007D20: 7EA20280
	s_mul_i32 s60, s83, s71                                    // 000000007D24: 923C4753
	v_add_u32_e64 v82, v44, s60                                // 000000007D28: D1340052 0000792C
	v_mov_b32_e32 v83, 0                                       // 000000007D30: 7EA60280
	s_mul_i32 s60, s84, s71                                    // 000000007D34: 923C4754
	v_add_u32_e64 v84, v44, s60                                // 000000007D38: D1340054 0000792C
	v_mov_b32_e32 v85, 0                                       // 000000007D40: 7EAA0280
	s_mul_i32 s60, s85, s71                                    // 000000007D44: 923C4755
	v_add_u32_e64 v86, v44, s60                                // 000000007D48: D1340056 0000792C
	v_mov_b32_e32 v87, 0                                       // 000000007D50: 7EAE0280
	s_mul_i32 s60, s86, s71                                    // 000000007D54: 923C4756
	v_add_u32_e64 v88, v44, s60                                // 000000007D58: D1340058 0000792C
	v_mov_b32_e32 v89, 0                                       // 000000007D60: 7EB20280
	s_mul_i32 s60, s87, s71                                    // 000000007D64: 923C4757
	v_add_u32_e64 v90, v44, s60                                // 000000007D68: D134005A 0000792C
	v_mov_b32_e32 v91, 0                                       // 000000007D70: 7EB60280
	s_mul_i32 s60, s88, s71                                    // 000000007D74: 923C4758
	v_add_u32_e64 v92, v44, s60                                // 000000007D78: D134005C 0000792C
	v_mov_b32_e32 v93, 0                                       // 000000007D80: 7EBA0280
	s_mul_i32 s60, s89, s71                                    // 000000007D84: 923C4759
	v_add_u32_e64 v94, v44, s60                                // 000000007D88: D134005E 0000792C
	v_mov_b32_e32 v95, 0                                       // 000000007D90: 7EBE0280
	buffer_load_dword v12, v5, s[16:19], 0 offen               // 000000007D94: E0501000 80040C05
	v_mov_b32_e32 v22, 0x358637bd                              // 000000007D9C: 7E2C02FF 358637BD
	v_mov_b32_e32 v23, 0x358637bd                              // 000000007DA4: 7E2E02FF 358637BD
	v_max3_f32 v22, |v128|, |v129|, v22                        // 000000007DAC: D1D30316 045B0380
	v_max3_f32 v22, |v130|, |v131|, v22                        // 000000007DB4: D1D30316 045B0782
	v_max3_f32 v23, |v132|, |v133|, v23                        // 000000007DBC: D1D30317 045F0B84
	v_max3_f32 v23, |v134|, |v135|, v23                        // 000000007DC4: D1D30317 045F0F86
	v_max3_f32 v22, |v136|, |v137|, v22                        // 000000007DCC: D1D30316 045B1388
	v_max3_f32 v22, |v138|, |v139|, v22                        // 000000007DD4: D1D30316 045B178A
	v_max3_f32 v23, |v140|, |v141|, v23                        // 000000007DDC: D1D30317 045F1B8C
	v_max3_f32 v23, |v142|, |v143|, v23                        // 000000007DE4: D1D30317 045F1F8E
	v_max3_f32 v22, |v144|, |v145|, v22                        // 000000007DEC: D1D30316 045B2390
	v_max3_f32 v22, |v146|, |v147|, v22                        // 000000007DF4: D1D30316 045B2792
	v_max3_f32 v23, |v148|, |v149|, v23                        // 000000007DFC: D1D30317 045F2B94
	v_max3_f32 v23, |v150|, |v151|, v23                        // 000000007E04: D1D30317 045F2F96
	v_max3_f32 v22, |v152|, |v153|, v22                        // 000000007E0C: D1D30316 045B3398
	v_max3_f32 v22, |v154|, |v155|, v22                        // 000000007E14: D1D30316 045B379A
	v_max3_f32 v23, |v156|, |v157|, v23                        // 000000007E1C: D1D30317 045F3B9C
	v_max3_f32 v23, |v158|, |v159|, v23                        // 000000007E24: D1D30317 045F3F9E
	v_max3_f32 v22, |v160|, |v161|, v22                        // 000000007E2C: D1D30316 045B43A0
	v_max3_f32 v22, |v162|, |v163|, v22                        // 000000007E34: D1D30316 045B47A2
	v_max3_f32 v23, |v164|, |v165|, v23                        // 000000007E3C: D1D30317 045F4BA4
	v_max3_f32 v23, |v166|, |v167|, v23                        // 000000007E44: D1D30317 045F4FA6
	v_max3_f32 v22, |v168|, |v169|, v22                        // 000000007E4C: D1D30316 045B53A8
	v_max3_f32 v22, |v170|, |v171|, v22                        // 000000007E54: D1D30316 045B57AA
	v_max3_f32 v23, |v172|, |v173|, v23                        // 000000007E5C: D1D30317 045F5BAC
	v_max3_f32 v23, |v174|, |v175|, v23                        // 000000007E64: D1D30317 045F5FAE
	v_max3_f32 v22, |v176|, |v177|, v22                        // 000000007E6C: D1D30316 045B63B0
	v_max3_f32 v22, |v178|, |v179|, v22                        // 000000007E74: D1D30316 045B67B2
	v_max3_f32 v23, |v180|, |v181|, v23                        // 000000007E7C: D1D30317 045F6BB4
	v_max3_f32 v23, |v182|, |v183|, v23                        // 000000007E84: D1D30317 045F6FB6
	v_max3_f32 v22, |v184|, |v185|, v22                        // 000000007E8C: D1D30316 045B73B8
	v_max3_f32 v22, |v186|, |v187|, v22                        // 000000007E94: D1D30316 045B77BA
	v_max3_f32 v23, |v188|, |v189|, v23                        // 000000007E9C: D1D30317 045F7BBC
	v_max3_f32 v23, |v190|, |v191|, v23                        // 000000007EA4: D1D30317 045F7FBE
	v_lshlrev_b32_e32 v44, 3, v0                               // 000000007EAC: 24580083
	s_mul_i32 s60, 0x200, s5                                   // 000000007EB0: 923C05FF 00000200
	v_add_u32_e32 v44, s60, v44                                // 000000007EB8: 6858583C
	ds_write_b64 v44, v[22:23]                                 // 000000007EBC: D89A0000 0000162C
	s_waitcnt lgkmcnt(0)                                       // 000000007EC4: BF8CC07F
	s_barrier                                                  // 000000007EC8: BF8A0000
	v_and_b32_e32 v44, 15, v0                                  // 000000007ECC: 2658008F
	v_lshlrev_b32_e32 v44, 3, v44                              // 000000007ED0: 24585883
	ds_read_b64 v[96:97], v44                                  // 000000007ED4: D8EC0000 6000002C
	ds_read_b64 v[98:99], v44 offset:128                       // 000000007EDC: D8EC0080 6200002C
	ds_read_b64 v[100:101], v44 offset:256                     // 000000007EE4: D8EC0100 6400002C
	ds_read_b64 v[102:103], v44 offset:384                     // 000000007EEC: D8EC0180 6600002C
	ds_read_b64 v[104:105], v44 offset:512                     // 000000007EF4: D8EC0200 6800002C
	ds_read_b64 v[106:107], v44 offset:640                     // 000000007EFC: D8EC0280 6A00002C
	ds_read_b64 v[108:109], v44 offset:768                     // 000000007F04: D8EC0300 6C00002C
	ds_read_b64 v[110:111], v44 offset:896                     // 000000007F0C: D8EC0380 6E00002C
	ds_read_b64 v[112:113], v44 offset:1024                    // 000000007F14: D8EC0400 7000002C
	ds_read_b64 v[114:115], v44 offset:1152                    // 000000007F1C: D8EC0480 7200002C
	ds_read_b64 v[116:117], v44 offset:1280                    // 000000007F24: D8EC0500 7400002C
	ds_read_b64 v[118:119], v44 offset:1408                    // 000000007F2C: D8EC0580 7600002C
	ds_read_b64 v[120:121], v44 offset:1536                    // 000000007F34: D8EC0600 7800002C
	ds_read_b64 v[122:123], v44 offset:1664                    // 000000007F3C: D8EC0680 7A00002C
	ds_read_b64 v[124:125], v44 offset:1792                    // 000000007F44: D8EC0700 7C00002C
	ds_read_b64 v[126:127], v44 offset:1920                    // 000000007F4C: D8EC0780 7E00002C
	s_waitcnt lgkmcnt(0)                                       // 000000007F54: BF8CC07F
	v_max3_f32 v22, |v96|, |v98|, v22                          // 000000007F58: D1D30316 045AC560
	v_max3_f32 v23, |v97|, |v99|, v23                          // 000000007F60: D1D30317 045EC761
	v_max3_f32 v22, |v100|, |v102|, v22                        // 000000007F68: D1D30316 045ACD64
	v_max3_f32 v23, |v101|, |v103|, v23                        // 000000007F70: D1D30317 045ECF65
	v_max3_f32 v22, |v104|, |v106|, v22                        // 000000007F78: D1D30316 045AD568
	v_max3_f32 v23, |v105|, |v107|, v23                        // 000000007F80: D1D30317 045ED769
	v_max3_f32 v22, |v108|, |v110|, v22                        // 000000007F88: D1D30316 045ADD6C
	v_max3_f32 v23, |v109|, |v111|, v23                        // 000000007F90: D1D30317 045EDF6D
	v_max3_f32 v22, |v112|, |v114|, v22                        // 000000007F98: D1D30316 045AE570
	v_max3_f32 v23, |v113|, |v115|, v23                        // 000000007FA0: D1D30317 045EE771
	v_max3_f32 v22, |v116|, |v118|, v22                        // 000000007FA8: D1D30316 045AED74
	v_max3_f32 v23, |v117|, |v119|, v23                        // 000000007FB0: D1D30317 045EEF75
	v_max3_f32 v22, |v120|, |v122|, v22                        // 000000007FB8: D1D30316 045AF578
	v_max3_f32 v23, |v121|, |v123|, v23                        // 000000007FC0: D1D30317 045EF779
	v_max3_f32 v22, |v124|, |v126|, v22                        // 000000007FC8: D1D30316 045AFD7C
	v_max3_f32 v23, |v125|, |v127|, v23                        // 000000007FD0: D1D30317 045EFF7D
	v_rcp_f32_e32 v22, v22                                     // 000000007FD8: 7E2C4516
	v_rcp_f32_e32 v23, v23                                     // 000000007FDC: 7E2E4517
	v_mov_b32_e32 v44, 0x43700000                              // 000000007FE0: 7E5802FF 43700000
	v_mul_f32_e32 v22, v44, v22                                // 000000007FE8: 0A2C2D2C
	v_mul_f32_e32 v23, v44, v23                                // 000000007FEC: 0A2E2F2C
	v_mul_f32_e32 v128, v22, v128                              // 000000007FF0: 0B010116
	v_mul_f32_e32 v129, v22, v129                              // 000000007FF4: 0B030316
	v_mul_f32_e32 v130, v22, v130                              // 000000007FF8: 0B050516
	v_mul_f32_e32 v131, v22, v131                              // 000000007FFC: 0B070716
	v_cvt_pk_fp8_f32 v128, v128, v129                          // 000000008000: D2A20080 00030380
	v_cvt_pk_fp8_f32 v128, v130, v131 op_sel:[0,0,1]           // 000000008008: D2A24080 00030782
	v_mul_f32_e32 v132, v23, v132                              // 000000008010: 0B090917
	v_mul_f32_e32 v133, v23, v133                              // 000000008014: 0B0B0B17
	v_mul_f32_e32 v134, v23, v134                              // 000000008018: 0B0D0D17
	v_mul_f32_e32 v135, v23, v135                              // 00000000801C: 0B0F0F17
	v_cvt_pk_fp8_f32 v129, v132, v133                          // 000000008020: D2A20081 00030B84
	v_cvt_pk_fp8_f32 v129, v134, v135 op_sel:[0,0,1]           // 000000008028: D2A24081 00030F86
	v_mul_f32_e32 v136, v22, v136                              // 000000008030: 0B111116
	v_mul_f32_e32 v137, v22, v137                              // 000000008034: 0B131316
	v_mul_f32_e32 v138, v22, v138                              // 000000008038: 0B151516
	v_mul_f32_e32 v139, v22, v139                              // 00000000803C: 0B171716
	v_cvt_pk_fp8_f32 v130, v136, v137                          // 000000008040: D2A20082 00031388
	v_cvt_pk_fp8_f32 v130, v138, v139 op_sel:[0,0,1]           // 000000008048: D2A24082 0003178A
	v_mul_f32_e32 v140, v23, v140                              // 000000008050: 0B191917
	v_mul_f32_e32 v141, v23, v141                              // 000000008054: 0B1B1B17
	v_mul_f32_e32 v142, v23, v142                              // 000000008058: 0B1D1D17
	v_mul_f32_e32 v143, v23, v143                              // 00000000805C: 0B1F1F17
	v_cvt_pk_fp8_f32 v131, v140, v141                          // 000000008060: D2A20083 00031B8C
	v_cvt_pk_fp8_f32 v131, v142, v143 op_sel:[0,0,1]           // 000000008068: D2A24083 00031F8E
	v_mul_f32_e32 v144, v22, v144                              // 000000008070: 0B212116
	v_mul_f32_e32 v145, v22, v145                              // 000000008074: 0B232316
	v_mul_f32_e32 v146, v22, v146                              // 000000008078: 0B252516
	v_mul_f32_e32 v147, v22, v147                              // 00000000807C: 0B272716
	v_cvt_pk_fp8_f32 v132, v144, v145                          // 000000008080: D2A20084 00032390
	v_cvt_pk_fp8_f32 v132, v146, v147 op_sel:[0,0,1]           // 000000008088: D2A24084 00032792
	v_mul_f32_e32 v148, v23, v148                              // 000000008090: 0B292917
	v_mul_f32_e32 v149, v23, v149                              // 000000008094: 0B2B2B17
	v_mul_f32_e32 v150, v23, v150                              // 000000008098: 0B2D2D17
	v_mul_f32_e32 v151, v23, v151                              // 00000000809C: 0B2F2F17
	v_cvt_pk_fp8_f32 v133, v148, v149                          // 0000000080A0: D2A20085 00032B94
	v_cvt_pk_fp8_f32 v133, v150, v151 op_sel:[0,0,1]           // 0000000080A8: D2A24085 00032F96
	v_mul_f32_e32 v152, v22, v152                              // 0000000080B0: 0B313116
	v_mul_f32_e32 v153, v22, v153                              // 0000000080B4: 0B333316
	v_mul_f32_e32 v154, v22, v154                              // 0000000080B8: 0B353516
	v_mul_f32_e32 v155, v22, v155                              // 0000000080BC: 0B373716
	v_cvt_pk_fp8_f32 v134, v152, v153                          // 0000000080C0: D2A20086 00033398
	v_cvt_pk_fp8_f32 v134, v154, v155 op_sel:[0,0,1]           // 0000000080C8: D2A24086 0003379A
	v_mul_f32_e32 v156, v23, v156                              // 0000000080D0: 0B393917
	v_mul_f32_e32 v157, v23, v157                              // 0000000080D4: 0B3B3B17
	v_mul_f32_e32 v158, v23, v158                              // 0000000080D8: 0B3D3D17
	v_mul_f32_e32 v159, v23, v159                              // 0000000080DC: 0B3F3F17
	v_cvt_pk_fp8_f32 v135, v156, v157                          // 0000000080E0: D2A20087 00033B9C
	v_cvt_pk_fp8_f32 v135, v158, v159 op_sel:[0,0,1]           // 0000000080E8: D2A24087 00033F9E
	v_mul_f32_e32 v160, v22, v160                              // 0000000080F0: 0B414116
	v_mul_f32_e32 v161, v22, v161                              // 0000000080F4: 0B434316
	v_mul_f32_e32 v162, v22, v162                              // 0000000080F8: 0B454516
	v_mul_f32_e32 v163, v22, v163                              // 0000000080FC: 0B474716
	v_cvt_pk_fp8_f32 v136, v160, v161                          // 000000008100: D2A20088 000343A0
	v_cvt_pk_fp8_f32 v136, v162, v163 op_sel:[0,0,1]           // 000000008108: D2A24088 000347A2
	v_mul_f32_e32 v164, v23, v164                              // 000000008110: 0B494917
	v_mul_f32_e32 v165, v23, v165                              // 000000008114: 0B4B4B17
	v_mul_f32_e32 v166, v23, v166                              // 000000008118: 0B4D4D17
	v_mul_f32_e32 v167, v23, v167                              // 00000000811C: 0B4F4F17
	v_cvt_pk_fp8_f32 v137, v164, v165                          // 000000008120: D2A20089 00034BA4
	v_cvt_pk_fp8_f32 v137, v166, v167 op_sel:[0,0,1]           // 000000008128: D2A24089 00034FA6
	v_mul_f32_e32 v168, v22, v168                              // 000000008130: 0B515116
	v_mul_f32_e32 v169, v22, v169                              // 000000008134: 0B535316
	v_mul_f32_e32 v170, v22, v170                              // 000000008138: 0B555516
	v_mul_f32_e32 v171, v22, v171                              // 00000000813C: 0B575716
	v_cvt_pk_fp8_f32 v138, v168, v169                          // 000000008140: D2A2008A 000353A8
	v_cvt_pk_fp8_f32 v138, v170, v171 op_sel:[0,0,1]           // 000000008148: D2A2408A 000357AA
	v_mul_f32_e32 v172, v23, v172                              // 000000008150: 0B595917
	v_mul_f32_e32 v173, v23, v173                              // 000000008154: 0B5B5B17
	v_mul_f32_e32 v174, v23, v174                              // 000000008158: 0B5D5D17
	v_mul_f32_e32 v175, v23, v175                              // 00000000815C: 0B5F5F17
	v_cvt_pk_fp8_f32 v139, v172, v173                          // 000000008160: D2A2008B 00035BAC
	v_cvt_pk_fp8_f32 v139, v174, v175 op_sel:[0,0,1]           // 000000008168: D2A2408B 00035FAE
	v_mul_f32_e32 v176, v22, v176                              // 000000008170: 0B616116
	v_mul_f32_e32 v177, v22, v177                              // 000000008174: 0B636316
	v_mul_f32_e32 v178, v22, v178                              // 000000008178: 0B656516
	v_mul_f32_e32 v179, v22, v179                              // 00000000817C: 0B676716
	v_cvt_pk_fp8_f32 v140, v176, v177                          // 000000008180: D2A2008C 000363B0
	v_cvt_pk_fp8_f32 v140, v178, v179 op_sel:[0,0,1]           // 000000008188: D2A2408C 000367B2
	v_mul_f32_e32 v180, v23, v180                              // 000000008190: 0B696917
	v_mul_f32_e32 v181, v23, v181                              // 000000008194: 0B6B6B17
	v_mul_f32_e32 v182, v23, v182                              // 000000008198: 0B6D6D17
	v_mul_f32_e32 v183, v23, v183                              // 00000000819C: 0B6F6F17
	v_cvt_pk_fp8_f32 v141, v180, v181                          // 0000000081A0: D2A2008D 00036BB4
	v_cvt_pk_fp8_f32 v141, v182, v183 op_sel:[0,0,1]           // 0000000081A8: D2A2408D 00036FB6
	v_mul_f32_e32 v184, v22, v184                              // 0000000081B0: 0B717116
	v_mul_f32_e32 v185, v22, v185                              // 0000000081B4: 0B737316
	v_mul_f32_e32 v186, v22, v186                              // 0000000081B8: 0B757516
	v_mul_f32_e32 v187, v22, v187                              // 0000000081BC: 0B777716
	v_cvt_pk_fp8_f32 v142, v184, v185                          // 0000000081C0: D2A2008E 000373B8
	v_cvt_pk_fp8_f32 v142, v186, v187 op_sel:[0,0,1]           // 0000000081C8: D2A2408E 000377BA
	v_mul_f32_e32 v188, v23, v188                              // 0000000081D0: 0B797917
	v_mul_f32_e32 v189, v23, v189                              // 0000000081D4: 0B7B7B17
	v_mul_f32_e32 v190, v23, v190                              // 0000000081D8: 0B7D7D17
	v_mul_f32_e32 v191, v23, v191                              // 0000000081DC: 0B7F7F17
	v_cvt_pk_fp8_f32 v143, v188, v189                          // 0000000081E0: D2A2008F 00037BBC
	v_cvt_pk_fp8_f32 v143, v190, v191 op_sel:[0,0,1]           // 0000000081E8: D2A2408F 00037FBE
	v_rcp_f32_e32 v24, v22                                     // 0000000081F0: 7E304516
	v_rcp_f32_e32 v25, v23                                     // 0000000081F4: 7E324517
	v_lshrrev_b32_e32 v44, 5, v0                               // 0000000081F8: 20580085
	v_lshlrev_b32_e32 v45, 5, v44                              // 0000000081FC: 245A5885
	v_and_b32_e32 v44, 31, v0                                  // 000000008200: 2658009F
	v_lshrrev_b32_e32 v46, 4, v44                              // 000000008204: 205C5884
	v_add_u32_e32 v45, v46, v45                                // 000000008208: 685A5B2E
	v_and_b32_e32 v44, 15, v0                                  // 00000000820C: 2658008F
	v_lshlrev_b32_e32 v44, 1, v44                              // 000000008210: 24585881
	v_add_u32_e32 v45, v44, v45                                // 000000008214: 685A5B2C
	v_lshlrev_b32_e32 v44, 2, v45                              // 000000008218: 24585A82
	s_mul_i32 s60, 0x100, s5                                   // 00000000821C: 923C05FF 00000100
	v_add_u32_e64 v44, v44, s60                                // 000000008224: D134002C 0000792C
	ds_write_b32 v44, v128 offset:2048                         // 00000000822C: D81A0800 0000802C
	ds_write_b32 v44, v129 offset:10240                        // 000000008234: D81A2800 0000812C
	ds_write_b32 v44, v130 offset:3072                         // 00000000823C: D81A0C00 0000822C
	ds_write_b32 v44, v131 offset:11264                        // 000000008244: D81A2C00 0000832C
	ds_write_b32 v44, v132 offset:4096                         // 00000000824C: D81A1000 0000842C
	ds_write_b32 v44, v133 offset:12288                        // 000000008254: D81A3000 0000852C
	ds_write_b32 v44, v134 offset:5120                         // 00000000825C: D81A1400 0000862C
	ds_write_b32 v44, v135 offset:13312                        // 000000008264: D81A3400 0000872C
	ds_write_b32 v44, v136 offset:6144                         // 00000000826C: D81A1800 0000882C
	ds_write_b32 v44, v137 offset:14336                        // 000000008274: D81A3800 0000892C
	ds_write_b32 v44, v138 offset:7168                         // 00000000827C: D81A1C00 00008A2C
	ds_write_b32 v44, v139 offset:15360                        // 000000008284: D81A3C00 00008B2C
	ds_write_b32 v44, v140 offset:8192                         // 00000000828C: D81A2000 00008C2C
	ds_write_b32 v44, v141 offset:16384                        // 000000008294: D81A4000 00008D2C
	ds_write_b32 v44, v142 offset:9216                         // 00000000829C: D81A2400 00008E2C
	ds_write_b32 v44, v143 offset:17408                        // 0000000082A4: D81A4400 00008F2C
	s_waitcnt lgkmcnt(0)                                       // 0000000082AC: BF8CC07F
	s_barrier                                                  // 0000000082B0: BF8A0000
	v_lshrrev_b32_e32 v44, 4, v0                               // 0000000082B4: 20580084
	v_lshlrev_b32_e32 v45, 6, v44                              // 0000000082B8: 245A5886
	v_and_b32_e32 v44, 15, v0                                  // 0000000082BC: 2658008F
	v_lshlrev_b32_e32 v44, 1, v44                              // 0000000082C0: 24585881
	v_add_u32_e32 v45, v44, v45                                // 0000000082C4: 685A5B2C
	v_lshlrev_b32_e32 v44, 2, v45                              // 0000000082C8: 24585A82
	ds_read_b64 v[128:129], v44 offset:2048                    // 0000000082CC: D8EC0800 8000002C
	ds_read_b64 v[130:131], v44 offset:2176                    // 0000000082D4: D8EC0880 8200002C
	ds_read_b64 v[132:133], v44 offset:3072                    // 0000000082DC: D8EC0C00 8400002C
	ds_read_b64 v[134:135], v44 offset:3200                    // 0000000082E4: D8EC0C80 8600002C
	ds_read_b64 v[136:137], v44 offset:4096                    // 0000000082EC: D8EC1000 8800002C
	ds_read_b64 v[138:139], v44 offset:4224                    // 0000000082F4: D8EC1080 8A00002C
	ds_read_b64 v[140:141], v44 offset:5120                    // 0000000082FC: D8EC1400 8C00002C
	ds_read_b64 v[142:143], v44 offset:5248                    // 000000008304: D8EC1480 8E00002C
	ds_read_b64 v[144:145], v44 offset:6144                    // 00000000830C: D8EC1800 9000002C
	ds_read_b64 v[146:147], v44 offset:6272                    // 000000008314: D8EC1880 9200002C
	ds_read_b64 v[148:149], v44 offset:7168                    // 00000000831C: D8EC1C00 9400002C
	ds_read_b64 v[150:151], v44 offset:7296                    // 000000008324: D8EC1C80 9600002C
	ds_read_b64 v[152:153], v44 offset:8192                    // 00000000832C: D8EC2000 9800002C
	ds_read_b64 v[154:155], v44 offset:8320                    // 000000008334: D8EC2080 9A00002C
	ds_read_b64 v[156:157], v44 offset:9216                    // 00000000833C: D8EC2400 9C00002C
	ds_read_b64 v[158:159], v44 offset:9344                    // 000000008344: D8EC2480 9E00002C
	ds_read_b64 v[160:161], v44 offset:10240                   // 00000000834C: D8EC2800 A000002C
	ds_read_b64 v[162:163], v44 offset:10368                   // 000000008354: D8EC2880 A200002C
	ds_read_b64 v[164:165], v44 offset:11264                   // 00000000835C: D8EC2C00 A400002C
	ds_read_b64 v[166:167], v44 offset:11392                   // 000000008364: D8EC2C80 A600002C
	ds_read_b64 v[168:169], v44 offset:12288                   // 00000000836C: D8EC3000 A800002C
	ds_read_b64 v[170:171], v44 offset:12416                   // 000000008374: D8EC3080 AA00002C
	ds_read_b64 v[172:173], v44 offset:13312                   // 00000000837C: D8EC3400 AC00002C
	ds_read_b64 v[174:175], v44 offset:13440                   // 000000008384: D8EC3480 AE00002C
	ds_read_b64 v[176:177], v44 offset:14336                   // 00000000838C: D8EC3800 B000002C
	ds_read_b64 v[178:179], v44 offset:14464                   // 000000008394: D8EC3880 B200002C
	ds_read_b64 v[180:181], v44 offset:15360                   // 00000000839C: D8EC3C00 B400002C
	ds_read_b64 v[182:183], v44 offset:15488                   // 0000000083A4: D8EC3C80 B600002C
	ds_read_b64 v[184:185], v44 offset:16384                   // 0000000083AC: D8EC4000 B800002C
	ds_read_b64 v[186:187], v44 offset:16512                   // 0000000083B4: D8EC4080 BA00002C
	ds_read_b64 v[188:189], v44 offset:17408                   // 0000000083BC: D8EC4400 BC00002C
	ds_read_b64 v[190:191], v44 offset:17536                   // 0000000083C4: D8EC4480 BE00002C
	s_add_u32 s12, s56, s12                                    // 0000000083CC: 800C0C38
	s_addc_u32 s13, 0, s13                                     // 0000000083D0: 820D0D80
	s_add_u32 s16, s79, s16                                    // 0000000083D4: 8010104F
	s_addc_u32 s17, 0, s17                                     // 0000000083D8: 82111180
	s_mov_b32 s80, 0                                           // 0000000083DC: BED00080
	s_waitcnt vmcnt(0) expcnt(0) lgkmcnt(0)                    // 0000000083E0: BF8C0000

00000000000083e4 <label_1579>:
	s_waitcnt vmcnt(45)                                        // 0000000083E4: BF8C8F7D
	s_barrier                                                  // 0000000083E8: BF8A0000
	v_mfma_f32_16x16x32_fp8_fp8 v[192:195], a[0:1], v[128:129], 0// 0000000083EC: D3F300C0 0A030100
	v_mfma_f32_16x16x32_fp8_fp8 v[192:195], a[2:3], v[130:131], v[192:195]// 0000000083F4: D3F300C0 0F030502
	buffer_load_dwordx4 a[128:131], v48, s[12:15], 0 offen     // 0000000083FC: E05C1000 80838030
	v_mfma_f32_16x16x32_fp8_fp8 v[196:199], a[0:1], v[160:161], 0// 000000008404: D3F300C4 0A034100
	v_mfma_f32_16x16x32_fp8_fp8 v[196:199], a[2:3], v[162:163], v[196:199]// 00000000840C: D3F300C4 0F134502
	v_mfma_f32_16x16x32_fp8_fp8 v[200:203], a[4:5], v[128:129], 0// 000000008414: D3F300C8 0A030104
	v_mfma_f32_16x16x32_fp8_fp8 v[200:203], a[6:7], v[130:131], v[200:203]// 00000000841C: D3F300C8 0F230506
	buffer_load_dwordx4 a[132:135], v49, s[12:15], 0 offen     // 000000008424: E05C1000 80838431
	v_mfma_f32_16x16x32_fp8_fp8 v[204:207], a[4:5], v[160:161], 0// 00000000842C: D3F300CC 0A034104
	v_mfma_f32_16x16x32_fp8_fp8 v[204:207], a[6:7], v[162:163], v[204:207]// 000000008434: D3F300CC 0F334506
	v_mfma_f32_16x16x32_fp8_fp8 v[208:211], a[8:9], v[128:129], 0// 00000000843C: D3F300D0 0A030108
	v_mfma_f32_16x16x32_fp8_fp8 v[208:211], a[10:11], v[130:131], v[208:211]// 000000008444: D3F300D0 0F43050A
	buffer_load_dwordx4 a[136:139], v50, s[12:15], 0 offen     // 00000000844C: E05C1000 80838832
	v_mfma_f32_16x16x32_fp8_fp8 v[212:215], a[8:9], v[160:161], 0// 000000008454: D3F300D4 0A034108
	v_mfma_f32_16x16x32_fp8_fp8 v[212:215], a[10:11], v[162:163], v[212:215]// 00000000845C: D3F300D4 0F53450A
	v_mfma_f32_16x16x32_fp8_fp8 v[216:219], a[12:13], v[128:129], 0// 000000008464: D3F300D8 0A03010C
	v_mfma_f32_16x16x32_fp8_fp8 v[216:219], a[14:15], v[130:131], v[216:219]// 00000000846C: D3F300D8 0F63050E
	buffer_load_dwordx4 a[140:143], v51, s[12:15], 0 offen     // 000000008474: E05C1000 80838C33
	s_add_u32 s12, s78, s12                                    // 00000000847C: 800C0C4E
	s_addc_u32 s13, 0, s13                                     // 000000008480: 820D0D80
	v_mfma_f32_16x16x32_fp8_fp8 v[220:223], a[12:13], v[160:161], 0// 000000008484: D3F300DC 0A03410C
	v_mfma_f32_16x16x32_fp8_fp8 v[220:223], a[14:15], v[162:163], v[220:223]// 00000000848C: D3F300DC 0F73450E
	s_waitcnt vmcnt(45)                                        // 000000008494: BF8C8F7D
	v_mfma_f32_16x16x32_fp8_fp8 v[192:195], a[16:17], v[132:133], v[192:195]// 000000008498: D3F300C0 0F030910
	v_mfma_f32_16x16x32_fp8_fp8 v[192:195], a[18:19], v[134:135], v[192:195]// 0000000084A0: D3F300C0 0F030D12
	buffer_load_dwordx4 a[144:147], v48, s[12:15], 0 offen     // 0000000084A8: E05C1000 80839030
	v_mfma_f32_16x16x32_fp8_fp8 v[196:199], a[16:17], v[164:165], v[196:199]// 0000000084B0: D3F300C4 0F134910
	v_mfma_f32_16x16x32_fp8_fp8 v[196:199], a[18:19], v[166:167], v[196:199]// 0000000084B8: D3F300C4 0F134D12
	v_mfma_f32_16x16x32_fp8_fp8 v[200:203], a[20:21], v[132:133], v[200:203]// 0000000084C0: D3F300C8 0F230914
	v_mfma_f32_16x16x32_fp8_fp8 v[200:203], a[22:23], v[134:135], v[200:203]// 0000000084C8: D3F300C8 0F230D16
	buffer_load_dwordx4 a[148:151], v49, s[12:15], 0 offen     // 0000000084D0: E05C1000 80839431
	v_mfma_f32_16x16x32_fp8_fp8 v[204:207], a[20:21], v[164:165], v[204:207]// 0000000084D8: D3F300CC 0F334914
	v_mfma_f32_16x16x32_fp8_fp8 v[204:207], a[22:23], v[166:167], v[204:207]// 0000000084E0: D3F300CC 0F334D16
	v_mfma_f32_16x16x32_fp8_fp8 v[208:211], a[24:25], v[132:133], v[208:211]// 0000000084E8: D3F300D0 0F430918
	v_mfma_f32_16x16x32_fp8_fp8 v[208:211], a[26:27], v[134:135], v[208:211]// 0000000084F0: D3F300D0 0F430D1A
	buffer_load_dwordx4 a[152:155], v50, s[12:15], 0 offen     // 0000000084F8: E05C1000 80839832
	v_mfma_f32_16x16x32_fp8_fp8 v[212:215], a[24:25], v[164:165], v[212:215]// 000000008500: D3F300D4 0F534918
	v_mfma_f32_16x16x32_fp8_fp8 v[212:215], a[26:27], v[166:167], v[212:215]// 000000008508: D3F300D4 0F534D1A
	v_mfma_f32_16x16x32_fp8_fp8 v[216:219], a[28:29], v[132:133], v[216:219]// 000000008510: D3F300D8 0F63091C
	v_mfma_f32_16x16x32_fp8_fp8 v[216:219], a[30:31], v[134:135], v[216:219]// 000000008518: D3F300D8 0F630D1E
	buffer_load_dwordx4 a[156:159], v51, s[12:15], 0 offen     // 000000008520: E05C1000 80839C33
	s_add_u32 s12, s78, s12                                    // 000000008528: 800C0C4E
	s_addc_u32 s13, 0, s13                                     // 00000000852C: 820D0D80
	v_mfma_f32_16x16x32_fp8_fp8 v[220:223], a[28:29], v[164:165], v[220:223]// 000000008530: D3F300DC 0F73491C
	v_mfma_f32_16x16x32_fp8_fp8 v[220:223], a[30:31], v[166:167], v[220:223]// 000000008538: D3F300DC 0F734D1E
	s_waitcnt vmcnt(45)                                        // 000000008540: BF8C8F7D
	v_mfma_f32_16x16x32_fp8_fp8 v[192:195], a[32:33], v[136:137], v[192:195]// 000000008544: D3F300C0 0F031120
	v_mfma_f32_16x16x32_fp8_fp8 v[192:195], a[34:35], v[138:139], v[192:195]// 00000000854C: D3F300C0 0F031522
	buffer_load_dwordx4 a[160:163], v48, s[12:15], 0 offen     // 000000008554: E05C1000 8083A030
	v_mfma_f32_16x16x32_fp8_fp8 v[196:199], a[32:33], v[168:169], v[196:199]// 00000000855C: D3F300C4 0F135120
	v_mfma_f32_16x16x32_fp8_fp8 v[196:199], a[34:35], v[170:171], v[196:199]// 000000008564: D3F300C4 0F135522
	v_mfma_f32_16x16x32_fp8_fp8 v[200:203], a[36:37], v[136:137], v[200:203]// 00000000856C: D3F300C8 0F231124
	v_mfma_f32_16x16x32_fp8_fp8 v[200:203], a[38:39], v[138:139], v[200:203]// 000000008574: D3F300C8 0F231526
	buffer_load_dwordx4 a[164:167], v49, s[12:15], 0 offen     // 00000000857C: E05C1000 8083A431
	v_mfma_f32_16x16x32_fp8_fp8 v[204:207], a[36:37], v[168:169], v[204:207]// 000000008584: D3F300CC 0F335124
	v_mfma_f32_16x16x32_fp8_fp8 v[204:207], a[38:39], v[170:171], v[204:207]// 00000000858C: D3F300CC 0F335526
	v_mfma_f32_16x16x32_fp8_fp8 v[208:211], a[40:41], v[136:137], v[208:211]// 000000008594: D3F300D0 0F431128
	v_mfma_f32_16x16x32_fp8_fp8 v[208:211], a[42:43], v[138:139], v[208:211]// 00000000859C: D3F300D0 0F43152A
	buffer_load_dwordx4 a[168:171], v50, s[12:15], 0 offen     // 0000000085A4: E05C1000 8083A832
	v_mfma_f32_16x16x32_fp8_fp8 v[212:215], a[40:41], v[168:169], v[212:215]// 0000000085AC: D3F300D4 0F535128
	v_mfma_f32_16x16x32_fp8_fp8 v[212:215], a[42:43], v[170:171], v[212:215]// 0000000085B4: D3F300D4 0F53552A
	v_mfma_f32_16x16x32_fp8_fp8 v[216:219], a[44:45], v[136:137], v[216:219]// 0000000085BC: D3F300D8 0F63112C
	v_mfma_f32_16x16x32_fp8_fp8 v[216:219], a[46:47], v[138:139], v[216:219]// 0000000085C4: D3F300D8 0F63152E
	buffer_load_dwordx4 a[172:175], v51, s[12:15], 0 offen     // 0000000085CC: E05C1000 8083AC33
	s_add_u32 s12, s78, s12                                    // 0000000085D4: 800C0C4E
	s_addc_u32 s13, 0, s13                                     // 0000000085D8: 820D0D80
	v_mfma_f32_16x16x32_fp8_fp8 v[220:223], a[44:45], v[168:169], v[220:223]// 0000000085DC: D3F300DC 0F73512C
	v_mfma_f32_16x16x32_fp8_fp8 v[220:223], a[46:47], v[170:171], v[220:223]// 0000000085E4: D3F300DC 0F73552E
	s_waitcnt vmcnt(45)                                        // 0000000085EC: BF8C8F7D
	v_mfma_f32_16x16x32_fp8_fp8 v[192:195], a[48:49], v[140:141], v[192:195]// 0000000085F0: D3F300C0 0F031930
	v_mfma_f32_16x16x32_fp8_fp8 v[192:195], a[50:51], v[142:143], v[192:195]// 0000000085F8: D3F300C0 0F031D32
	buffer_load_dwordx4 a[176:179], v48, s[12:15], 0 offen     // 000000008600: E05C1000 8083B030
	v_mfma_f32_16x16x32_fp8_fp8 v[196:199], a[48:49], v[172:173], v[196:199]// 000000008608: D3F300C4 0F135930
	v_mfma_f32_16x16x32_fp8_fp8 v[196:199], a[50:51], v[174:175], v[196:199]// 000000008610: D3F300C4 0F135D32
	v_mfma_f32_16x16x32_fp8_fp8 v[200:203], a[52:53], v[140:141], v[200:203]// 000000008618: D3F300C8 0F231934
	v_mfma_f32_16x16x32_fp8_fp8 v[200:203], a[54:55], v[142:143], v[200:203]// 000000008620: D3F300C8 0F231D36
	buffer_load_dwordx4 a[180:183], v49, s[12:15], 0 offen     // 000000008628: E05C1000 8083B431
	v_mfma_f32_16x16x32_fp8_fp8 v[204:207], a[52:53], v[172:173], v[204:207]// 000000008630: D3F300CC 0F335934
	v_mfma_f32_16x16x32_fp8_fp8 v[204:207], a[54:55], v[174:175], v[204:207]// 000000008638: D3F300CC 0F335D36
	v_mfma_f32_16x16x32_fp8_fp8 v[208:211], a[56:57], v[140:141], v[208:211]// 000000008640: D3F300D0 0F431938
	v_mfma_f32_16x16x32_fp8_fp8 v[208:211], a[58:59], v[142:143], v[208:211]// 000000008648: D3F300D0 0F431D3A
	buffer_load_dwordx4 a[184:187], v50, s[12:15], 0 offen     // 000000008650: E05C1000 8083B832
	v_mfma_f32_16x16x32_fp8_fp8 v[212:215], a[56:57], v[172:173], v[212:215]// 000000008658: D3F300D4 0F535938
	v_mfma_f32_16x16x32_fp8_fp8 v[212:215], a[58:59], v[174:175], v[212:215]// 000000008660: D3F300D4 0F535D3A
	v_mfma_f32_16x16x32_fp8_fp8 v[216:219], a[60:61], v[140:141], v[216:219]// 000000008668: D3F300D8 0F63193C
	v_mfma_f32_16x16x32_fp8_fp8 v[216:219], a[62:63], v[142:143], v[216:219]// 000000008670: D3F300D8 0F631D3E
	buffer_load_dwordx4 a[188:191], v51, s[12:15], 0 offen     // 000000008678: E05C1000 8083BC33
	s_add_u32 s12, s78, s12                                    // 000000008680: 800C0C4E
	s_addc_u32 s13, 0, s13                                     // 000000008684: 820D0D80
	v_mfma_f32_16x16x32_fp8_fp8 v[220:223], a[60:61], v[172:173], v[220:223]// 000000008688: D3F300DC 0F73593C
	v_mfma_f32_16x16x32_fp8_fp8 v[220:223], a[62:63], v[174:175], v[220:223]// 000000008690: D3F300DC 0F735D3E
	s_waitcnt vmcnt(45)                                        // 000000008698: BF8C8F7D
	v_mfma_f32_16x16x32_fp8_fp8 v[192:195], a[64:65], v[144:145], v[192:195]// 00000000869C: D3F300C0 0F032140
	v_mfma_f32_16x16x32_fp8_fp8 v[192:195], a[66:67], v[146:147], v[192:195]// 0000000086A4: D3F300C0 0F032542
	buffer_load_dwordx4 a[192:195], v48, s[12:15], 0 offen     // 0000000086AC: E05C1000 8083C030
	v_mfma_f32_16x16x32_fp8_fp8 v[196:199], a[64:65], v[176:177], v[196:199]// 0000000086B4: D3F300C4 0F136140
	v_mfma_f32_16x16x32_fp8_fp8 v[196:199], a[66:67], v[178:179], v[196:199]// 0000000086BC: D3F300C4 0F136542
	v_mfma_f32_16x16x32_fp8_fp8 v[200:203], a[68:69], v[144:145], v[200:203]// 0000000086C4: D3F300C8 0F232144
	v_mfma_f32_16x16x32_fp8_fp8 v[200:203], a[70:71], v[146:147], v[200:203]// 0000000086CC: D3F300C8 0F232546
	buffer_load_dwordx4 a[196:199], v49, s[12:15], 0 offen     // 0000000086D4: E05C1000 8083C431
	v_mfma_f32_16x16x32_fp8_fp8 v[204:207], a[68:69], v[176:177], v[204:207]// 0000000086DC: D3F300CC 0F336144
	v_mfma_f32_16x16x32_fp8_fp8 v[204:207], a[70:71], v[178:179], v[204:207]// 0000000086E4: D3F300CC 0F336546
	v_mfma_f32_16x16x32_fp8_fp8 v[208:211], a[72:73], v[144:145], v[208:211]// 0000000086EC: D3F300D0 0F432148
	v_mfma_f32_16x16x32_fp8_fp8 v[208:211], a[74:75], v[146:147], v[208:211]// 0000000086F4: D3F300D0 0F43254A
	buffer_load_dwordx4 a[200:203], v50, s[12:15], 0 offen     // 0000000086FC: E05C1000 8083C832
	v_mfma_f32_16x16x32_fp8_fp8 v[212:215], a[72:73], v[176:177], v[212:215]// 000000008704: D3F300D4 0F536148
	v_mfma_f32_16x16x32_fp8_fp8 v[212:215], a[74:75], v[178:179], v[212:215]// 00000000870C: D3F300D4 0F53654A
	v_mfma_f32_16x16x32_fp8_fp8 v[216:219], a[76:77], v[144:145], v[216:219]// 000000008714: D3F300D8 0F63214C
	v_mfma_f32_16x16x32_fp8_fp8 v[216:219], a[78:79], v[146:147], v[216:219]// 00000000871C: D3F300D8 0F63254E
	buffer_load_dwordx4 a[204:207], v51, s[12:15], 0 offen     // 000000008724: E05C1000 8083CC33
	s_add_u32 s12, s78, s12                                    // 00000000872C: 800C0C4E
	s_addc_u32 s13, 0, s13                                     // 000000008730: 820D0D80
	v_mfma_f32_16x16x32_fp8_fp8 v[220:223], a[76:77], v[176:177], v[220:223]// 000000008734: D3F300DC 0F73614C
	v_mfma_f32_16x16x32_fp8_fp8 v[220:223], a[78:79], v[178:179], v[220:223]// 00000000873C: D3F300DC 0F73654E
	s_waitcnt vmcnt(45)                                        // 000000008744: BF8C8F7D
	v_mfma_f32_16x16x32_fp8_fp8 v[192:195], a[80:81], v[148:149], v[192:195]// 000000008748: D3F300C0 0F032950
	v_mfma_f32_16x16x32_fp8_fp8 v[192:195], a[82:83], v[150:151], v[192:195]// 000000008750: D3F300C0 0F032D52
	buffer_load_dwordx4 a[208:211], v48, s[12:15], 0 offen     // 000000008758: E05C1000 8083D030
	v_mfma_f32_16x16x32_fp8_fp8 v[196:199], a[80:81], v[180:181], v[196:199]// 000000008760: D3F300C4 0F136950
	v_mfma_f32_16x16x32_fp8_fp8 v[196:199], a[82:83], v[182:183], v[196:199]// 000000008768: D3F300C4 0F136D52
	v_mfma_f32_16x16x32_fp8_fp8 v[200:203], a[84:85], v[148:149], v[200:203]// 000000008770: D3F300C8 0F232954
	v_mfma_f32_16x16x32_fp8_fp8 v[200:203], a[86:87], v[150:151], v[200:203]// 000000008778: D3F300C8 0F232D56
	buffer_load_dwordx4 a[212:215], v49, s[12:15], 0 offen     // 000000008780: E05C1000 8083D431
	v_mfma_f32_16x16x32_fp8_fp8 v[204:207], a[84:85], v[180:181], v[204:207]// 000000008788: D3F300CC 0F336954
	v_mfma_f32_16x16x32_fp8_fp8 v[204:207], a[86:87], v[182:183], v[204:207]// 000000008790: D3F300CC 0F336D56
	v_mfma_f32_16x16x32_fp8_fp8 v[208:211], a[88:89], v[148:149], v[208:211]// 000000008798: D3F300D0 0F432958
	v_mfma_f32_16x16x32_fp8_fp8 v[208:211], a[90:91], v[150:151], v[208:211]// 0000000087A0: D3F300D0 0F432D5A
	buffer_load_dwordx4 a[216:219], v50, s[12:15], 0 offen     // 0000000087A8: E05C1000 8083D832
	v_mfma_f32_16x16x32_fp8_fp8 v[212:215], a[88:89], v[180:181], v[212:215]// 0000000087B0: D3F300D4 0F536958
	v_mfma_f32_16x16x32_fp8_fp8 v[212:215], a[90:91], v[182:183], v[212:215]// 0000000087B8: D3F300D4 0F536D5A
	v_mfma_f32_16x16x32_fp8_fp8 v[216:219], a[92:93], v[148:149], v[216:219]// 0000000087C0: D3F300D8 0F63295C
	v_mfma_f32_16x16x32_fp8_fp8 v[216:219], a[94:95], v[150:151], v[216:219]// 0000000087C8: D3F300D8 0F632D5E
	buffer_load_dwordx4 a[220:223], v51, s[12:15], 0 offen     // 0000000087D0: E05C1000 8083DC33
	s_add_u32 s12, s78, s12                                    // 0000000087D8: 800C0C4E
	s_addc_u32 s13, 0, s13                                     // 0000000087DC: 820D0D80
	v_mfma_f32_16x16x32_fp8_fp8 v[220:223], a[92:93], v[180:181], v[220:223]// 0000000087E0: D3F300DC 0F73695C
	v_mfma_f32_16x16x32_fp8_fp8 v[220:223], a[94:95], v[182:183], v[220:223]// 0000000087E8: D3F300DC 0F736D5E
	s_waitcnt vmcnt(45)                                        // 0000000087F0: BF8C8F7D
	v_mfma_f32_16x16x32_fp8_fp8 v[192:195], a[96:97], v[152:153], v[192:195]// 0000000087F4: D3F300C0 0F033160
	v_mfma_f32_16x16x32_fp8_fp8 v[192:195], a[98:99], v[154:155], v[192:195]// 0000000087FC: D3F300C0 0F033562
	buffer_load_dwordx4 a[224:227], v48, s[12:15], 0 offen     // 000000008804: E05C1000 8083E030
	v_mfma_f32_16x16x32_fp8_fp8 v[196:199], a[96:97], v[184:185], v[196:199]// 00000000880C: D3F300C4 0F137160
	v_mfma_f32_16x16x32_fp8_fp8 v[196:199], a[98:99], v[186:187], v[196:199]// 000000008814: D3F300C4 0F137562
	v_mfma_f32_16x16x32_fp8_fp8 v[200:203], a[100:101], v[152:153], v[200:203]// 00000000881C: D3F300C8 0F233164
	v_mfma_f32_16x16x32_fp8_fp8 v[200:203], a[102:103], v[154:155], v[200:203]// 000000008824: D3F300C8 0F233566
	buffer_load_dwordx4 a[228:231], v49, s[12:15], 0 offen     // 00000000882C: E05C1000 8083E431
	v_mfma_f32_16x16x32_fp8_fp8 v[204:207], a[100:101], v[184:185], v[204:207]// 000000008834: D3F300CC 0F337164
	v_mfma_f32_16x16x32_fp8_fp8 v[204:207], a[102:103], v[186:187], v[204:207]// 00000000883C: D3F300CC 0F337566
	v_mfma_f32_16x16x32_fp8_fp8 v[208:211], a[104:105], v[152:153], v[208:211]// 000000008844: D3F300D0 0F433168
	v_mfma_f32_16x16x32_fp8_fp8 v[208:211], a[106:107], v[154:155], v[208:211]// 00000000884C: D3F300D0 0F43356A
	buffer_load_dwordx4 a[232:235], v50, s[12:15], 0 offen     // 000000008854: E05C1000 8083E832
	v_mfma_f32_16x16x32_fp8_fp8 v[212:215], a[104:105], v[184:185], v[212:215]// 00000000885C: D3F300D4 0F537168
	v_mfma_f32_16x16x32_fp8_fp8 v[212:215], a[106:107], v[186:187], v[212:215]// 000000008864: D3F300D4 0F53756A
	v_mfma_f32_16x16x32_fp8_fp8 v[216:219], a[108:109], v[152:153], v[216:219]// 00000000886C: D3F300D8 0F63316C
	v_mfma_f32_16x16x32_fp8_fp8 v[216:219], a[110:111], v[154:155], v[216:219]// 000000008874: D3F300D8 0F63356E
	buffer_load_dwordx4 a[236:239], v51, s[12:15], 0 offen     // 00000000887C: E05C1000 8083EC33
	s_add_u32 s12, s78, s12                                    // 000000008884: 800C0C4E
	s_addc_u32 s13, 0, s13                                     // 000000008888: 820D0D80
	v_mfma_f32_16x16x32_fp8_fp8 v[220:223], a[108:109], v[184:185], v[220:223]// 00000000888C: D3F300DC 0F73716C
	v_mfma_f32_16x16x32_fp8_fp8 v[220:223], a[110:111], v[186:187], v[220:223]// 000000008894: D3F300DC 0F73756E
	s_waitcnt vmcnt(44)                                        // 00000000889C: BF8C8F7C
	v_mfma_f32_16x16x32_fp8_fp8 v[192:195], a[112:113], v[156:157], v[192:195]// 0000000088A0: D3F300C0 0F033970
	v_mfma_f32_16x16x32_fp8_fp8 v[192:195], a[114:115], v[158:159], v[192:195]// 0000000088A8: D3F300C0 0F033D72
	buffer_load_dwordx4 a[240:243], v48, s[12:15], 0 offen     // 0000000088B0: E05C1000 8083F030
	v_mfma_f32_16x16x32_fp8_fp8 v[196:199], a[112:113], v[188:189], v[196:199]// 0000000088B8: D3F300C4 0F137970
	v_mfma_f32_16x16x32_fp8_fp8 v[196:199], a[114:115], v[190:191], v[196:199]// 0000000088C0: D3F300C4 0F137D72
	buffer_load_dword v13, v5, s[16:19], 0 offen               // 0000000088C8: E0501000 80040D05
	v_mfma_f32_16x16x32_fp8_fp8 v[200:203], a[116:117], v[156:157], v[200:203]// 0000000088D0: D3F300C8 0F233974
	v_mfma_f32_16x16x32_fp8_fp8 v[200:203], a[118:119], v[158:159], v[200:203]// 0000000088D8: D3F300C8 0F233D76
	buffer_load_dwordx4 a[244:247], v49, s[12:15], 0 offen     // 0000000088E0: E05C1000 8083F431
	v_mfma_f32_16x16x32_fp8_fp8 v[204:207], a[116:117], v[188:189], v[204:207]// 0000000088E8: D3F300CC 0F337974
	v_mfma_f32_16x16x32_fp8_fp8 v[204:207], a[118:119], v[190:191], v[204:207]// 0000000088F0: D3F300CC 0F337D76
	v_mfma_f32_16x16x32_fp8_fp8 v[208:211], a[120:121], v[156:157], v[208:211]// 0000000088F8: D3F300D0 0F433978
	v_mfma_f32_16x16x32_fp8_fp8 v[208:211], a[122:123], v[158:159], v[208:211]// 000000008900: D3F300D0 0F433D7A
	buffer_load_dwordx4 a[248:251], v50, s[12:15], 0 offen     // 000000008908: E05C1000 8083F832
	v_mfma_f32_16x16x32_fp8_fp8 v[212:215], a[120:121], v[188:189], v[212:215]// 000000008910: D3F300D4 0F537978
	v_mfma_f32_16x16x32_fp8_fp8 v[212:215], a[122:123], v[190:191], v[212:215]// 000000008918: D3F300D4 0F537D7A
	v_mfma_f32_16x16x32_fp8_fp8 v[216:219], a[124:125], v[156:157], v[216:219]// 000000008920: D3F300D8 0F63397C
	v_mfma_f32_16x16x32_fp8_fp8 v[216:219], a[126:127], v[158:159], v[216:219]// 000000008928: D3F300D8 0F633D7E
	buffer_load_dwordx4 a[252:255], v51, s[12:15], 0 offen     // 000000008930: E05C1000 8083FC33
	v_mfma_f32_16x16x32_fp8_fp8 v[220:223], a[124:125], v[188:189], v[220:223]// 000000008938: D3F300DC 0F73797C
	v_mfma_f32_16x16x32_fp8_fp8 v[220:223], a[126:127], v[190:191], v[220:223]// 000000008940: D3F300DC 0F737D7E
	s_add_u32 s60, 0x200, s80                                  // 000000008948: 803C50FF 00000200
	s_cmp_lt_u32 s60, s81                                      // 000000008950: BF0A513C
	s_cselect_b32 s56, s56, 0                                  // 000000008954: 85388038
	s_cselect_b32 s78, s78, 0                                  // 000000008958: 854E804E
	s_cselect_b32 s79, s79, 0                                  // 00000000895C: 854F804F
	s_add_u32 s12, s56, s12                                    // 000000008960: 800C0C38
	s_addc_u32 s13, 0, s13                                     // 000000008964: 820D0D80
	s_add_u32 s16, s79, s16                                    // 000000008968: 8010104F
	s_addc_u32 s17, 0, s17                                     // 00000000896C: 82111180
	v_mov_b32_e32 v44, v24                                     // 000000008970: 7E580318
	v_mov_b32_e32 v46, v20                                     // 000000008974: 7E5C0314
	v_mov_b32_e32 v45, v44                                     // 000000008978: 7E5A032C
	v_mov_b32_e32 v47, v46                                     // 00000000897C: 7E5E032E
	v_pk_mul_f32 v[192:193], v[44:45], v[192:193]              // 000000008980: D3B140C0 1803812C
	v_pk_mul_f32 v[194:195], v[44:45], v[194:195]              // 000000008988: D3B140C2 1803852C
	v_mul_f32_dpp v192, v12, v192 row_newbcast:0 row_mask:0xf bank_mask:0xf// 000000008990: 0B8180FA FF01500C
	v_mul_f32_dpp v193, v12, v193 row_newbcast:1 row_mask:0xf bank_mask:0xf// 000000008998: 0B8382FA FF01510C
	v_mul_f32_dpp v194, v12, v194 row_newbcast:2 row_mask:0xf bank_mask:0xf// 0000000089A0: 0B8584FA FF01520C
	v_mul_f32_dpp v195, v12, v195 row_newbcast:3 row_mask:0xf bank_mask:0xf// 0000000089A8: 0B8786FA FF01530C
	v_pk_mul_f32 v[192:193], v[46:47], v[192:193]              // 0000000089B0: D3B140C0 1803812E
	v_pk_mul_f32 v[194:195], v[46:47], v[194:195]              // 0000000089B8: D3B140C2 1803852E
	v_pk_mul_f32 v[200:201], v[44:45], v[200:201]              // 0000000089C0: D3B140C8 1803912C
	v_pk_mul_f32 v[202:203], v[44:45], v[202:203]              // 0000000089C8: D3B140CA 1803952C
	v_mul_f32_dpp v200, v12, v200 row_newbcast:4 row_mask:0xf bank_mask:0xf// 0000000089D0: 0B9190FA FF01540C
	v_mul_f32_dpp v201, v12, v201 row_newbcast:5 row_mask:0xf bank_mask:0xf// 0000000089D8: 0B9392FA FF01550C
	v_mul_f32_dpp v202, v12, v202 row_newbcast:6 row_mask:0xf bank_mask:0xf// 0000000089E0: 0B9594FA FF01560C
	v_mul_f32_dpp v203, v12, v203 row_newbcast:7 row_mask:0xf bank_mask:0xf// 0000000089E8: 0B9796FA FF01570C
	v_pk_mul_f32 v[200:201], v[46:47], v[200:201]              // 0000000089F0: D3B140C8 1803912E
	v_pk_mul_f32 v[202:203], v[46:47], v[202:203]              // 0000000089F8: D3B140CA 1803952E
	v_pk_mul_f32 v[208:209], v[44:45], v[208:209]              // 000000008A00: D3B140D0 1803A12C
	v_pk_mul_f32 v[210:211], v[44:45], v[210:211]              // 000000008A08: D3B140D2 1803A52C
	v_mul_f32_dpp v208, v12, v208 row_newbcast:8 row_mask:0xf bank_mask:0xf// 000000008A10: 0BA1A0FA FF01580C
	v_mul_f32_dpp v209, v12, v209 row_newbcast:9 row_mask:0xf bank_mask:0xf// 000000008A18: 0BA3A2FA FF01590C
	v_mul_f32_dpp v210, v12, v210 row_newbcast:10 row_mask:0xf bank_mask:0xf// 000000008A20: 0BA5A4FA FF015A0C
	v_mul_f32_dpp v211, v12, v211 row_newbcast:11 row_mask:0xf bank_mask:0xf// 000000008A28: 0BA7A6FA FF015B0C
	v_pk_mul_f32 v[208:209], v[46:47], v[208:209]              // 000000008A30: D3B140D0 1803A12E
	v_pk_mul_f32 v[210:211], v[46:47], v[210:211]              // 000000008A38: D3B140D2 1803A52E
	v_pk_mul_f32 v[216:217], v[44:45], v[216:217]              // 000000008A40: D3B140D8 1803B12C
	v_pk_mul_f32 v[218:219], v[44:45], v[218:219]              // 000000008A48: D3B140DA 1803B52C
	v_mul_f32_dpp v216, v12, v216 row_newbcast:12 row_mask:0xf bank_mask:0xf// 000000008A50: 0BB1B0FA FF015C0C
	v_mul_f32_dpp v217, v12, v217 row_newbcast:13 row_mask:0xf bank_mask:0xf// 000000008A58: 0BB3B2FA FF015D0C
	v_mul_f32_dpp v218, v12, v218 row_newbcast:14 row_mask:0xf bank_mask:0xf// 000000008A60: 0BB5B4FA FF015E0C
	v_mul_f32_dpp v219, v12, v219 row_newbcast:15 row_mask:0xf bank_mask:0xf// 000000008A68: 0BB7B6FA FF015F0C
	v_pk_mul_f32 v[216:217], v[46:47], v[216:217]              // 000000008A70: D3B140D8 1803B12E
	v_pk_mul_f32 v[218:219], v[46:47], v[218:219]              // 000000008A78: D3B140DA 1803B52E
	v_mov_b32_e32 v44, v25                                     // 000000008A80: 7E580319
	v_mov_b32_e32 v46, v21                                     // 000000008A84: 7E5C0315
	v_mov_b32_e32 v45, v44                                     // 000000008A88: 7E5A032C
	v_mov_b32_e32 v47, v46                                     // 000000008A8C: 7E5E032E
	v_pk_mul_f32 v[196:197], v[44:45], v[196:197]              // 000000008A90: D3B140C4 1803892C
	v_pk_mul_f32 v[198:199], v[44:45], v[198:199]              // 000000008A98: D3B140C6 18038D2C
	v_mul_f32_dpp v196, v12, v196 row_newbcast:0 row_mask:0xf bank_mask:0xf// 000000008AA0: 0B8988FA FF01500C
	v_mul_f32_dpp v197, v12, v197 row_newbcast:1 row_mask:0xf bank_mask:0xf// 000000008AA8: 0B8B8AFA FF01510C
	v_mul_f32_dpp v198, v12, v198 row_newbcast:2 row_mask:0xf bank_mask:0xf// 000000008AB0: 0B8D8CFA FF01520C
	v_mul_f32_dpp v199, v12, v199 row_newbcast:3 row_mask:0xf bank_mask:0xf// 000000008AB8: 0B8F8EFA FF01530C
	v_pk_mul_f32 v[196:197], v[46:47], v[196:197]              // 000000008AC0: D3B140C4 1803892E
	v_pk_mul_f32 v[198:199], v[46:47], v[198:199]              // 000000008AC8: D3B140C6 18038D2E
	v_pk_mul_f32 v[204:205], v[44:45], v[204:205]              // 000000008AD0: D3B140CC 1803992C
	v_pk_mul_f32 v[206:207], v[44:45], v[206:207]              // 000000008AD8: D3B140CE 18039D2C
	v_mul_f32_dpp v204, v12, v204 row_newbcast:4 row_mask:0xf bank_mask:0xf// 000000008AE0: 0B9998FA FF01540C
	v_mul_f32_dpp v205, v12, v205 row_newbcast:5 row_mask:0xf bank_mask:0xf// 000000008AE8: 0B9B9AFA FF01550C
	v_mul_f32_dpp v206, v12, v206 row_newbcast:6 row_mask:0xf bank_mask:0xf// 000000008AF0: 0B9D9CFA FF01560C
	v_mul_f32_dpp v207, v12, v207 row_newbcast:7 row_mask:0xf bank_mask:0xf// 000000008AF8: 0B9F9EFA FF01570C
	v_pk_mul_f32 v[204:205], v[46:47], v[204:205]              // 000000008B00: D3B140CC 1803992E
	v_pk_mul_f32 v[206:207], v[46:47], v[206:207]              // 000000008B08: D3B140CE 18039D2E
	v_pk_mul_f32 v[212:213], v[44:45], v[212:213]              // 000000008B10: D3B140D4 1803A92C
	v_pk_mul_f32 v[214:215], v[44:45], v[214:215]              // 000000008B18: D3B140D6 1803AD2C
	v_mul_f32_dpp v212, v12, v212 row_newbcast:8 row_mask:0xf bank_mask:0xf// 000000008B20: 0BA9A8FA FF01580C
	v_mul_f32_dpp v213, v12, v213 row_newbcast:9 row_mask:0xf bank_mask:0xf// 000000008B28: 0BABAAFA FF01590C
	v_mul_f32_dpp v214, v12, v214 row_newbcast:10 row_mask:0xf bank_mask:0xf// 000000008B30: 0BADACFA FF015A0C
	v_mul_f32_dpp v215, v12, v215 row_newbcast:11 row_mask:0xf bank_mask:0xf// 000000008B38: 0BAFAEFA FF015B0C
	v_pk_mul_f32 v[212:213], v[46:47], v[212:213]              // 000000008B40: D3B140D4 1803A92E
	v_pk_mul_f32 v[214:215], v[46:47], v[214:215]              // 000000008B48: D3B140D6 1803AD2E
	v_pk_mul_f32 v[220:221], v[44:45], v[220:221]              // 000000008B50: D3B140DC 1803B92C
	v_pk_mul_f32 v[222:223], v[44:45], v[222:223]              // 000000008B58: D3B140DE 1803BD2C
	v_mul_f32_dpp v220, v12, v220 row_newbcast:12 row_mask:0xf bank_mask:0xf// 000000008B60: 0BB9B8FA FF015C0C
	v_mul_f32_dpp v221, v12, v221 row_newbcast:13 row_mask:0xf bank_mask:0xf// 000000008B68: 0BBBBAFA FF015D0C
	v_mul_f32_dpp v222, v12, v222 row_newbcast:14 row_mask:0xf bank_mask:0xf// 000000008B70: 0BBDBCFA FF015E0C
	v_mul_f32_dpp v223, v12, v223 row_newbcast:15 row_mask:0xf bank_mask:0xf// 000000008B78: 0BBFBEFA FF015F0C
	v_pk_mul_f32 v[220:221], v[46:47], v[220:221]              // 000000008B80: D3B140DC 1803B92E
	v_pk_mul_f32 v[222:223], v[46:47], v[222:223]              // 000000008B88: D3B140DE 1803BD2E
	v_cvt_pkrtz_f16_f32 v192, v192, v193                       // 000000008B90: D29600C0 000383C0
	v_cvt_pkrtz_f16_f32 v193, v194, v195                       // 000000008B98: D29600C1 000387C2
	v_cvt_pkrtz_f16_f32 v194, v196, v197                       // 000000008BA0: D29600C2 00038BC4
	v_cvt_pkrtz_f16_f32 v195, v198, v199                       // 000000008BA8: D29600C3 00038FC6
	v_cvt_pkrtz_f16_f32 v196, v200, v201                       // 000000008BB0: D29600C4 000393C8
	v_cvt_pkrtz_f16_f32 v197, v202, v203                       // 000000008BB8: D29600C5 000397CA
	v_cvt_pkrtz_f16_f32 v198, v204, v205                       // 000000008BC0: D29600C6 00039BCC
	v_cvt_pkrtz_f16_f32 v199, v206, v207                       // 000000008BC8: D29600C7 00039FCE
	v_cvt_pkrtz_f16_f32 v200, v208, v209                       // 000000008BD0: D29600C8 0003A3D0
	v_cvt_pkrtz_f16_f32 v201, v210, v211                       // 000000008BD8: D29600C9 0003A7D2
	v_cvt_pkrtz_f16_f32 v202, v212, v213                       // 000000008BE0: D29600CA 0003ABD4
	v_cvt_pkrtz_f16_f32 v203, v214, v215                       // 000000008BE8: D29600CB 0003AFD6
	v_cvt_pkrtz_f16_f32 v204, v216, v217                       // 000000008BF0: D29600CC 0003B3D8
	v_cvt_pkrtz_f16_f32 v205, v218, v219                       // 000000008BF8: D29600CD 0003B7DA
	v_cvt_pkrtz_f16_f32 v206, v220, v221                       // 000000008C00: D29600CE 0003BBDC
	v_cvt_pkrtz_f16_f32 v207, v222, v223                       // 000000008C08: D29600CF 0003BFDE
	ds_write_b64 v3, v[192:193] offset:2048                    // 000000008C10: D89A0800 0000C003
	ds_write_b64 v3, v[194:195] offset:10752                   // 000000008C18: D89A2A00 0000C203
	ds_write_b64 v3, v[196:197] offset:4224                    // 000000008C20: D89A1080 0000C403
	ds_write_b64 v3, v[198:199] offset:12928                   // 000000008C28: D89A3280 0000C603
	ds_write_b64 v3, v[200:201] offset:6400                    // 000000008C30: D89A1900 0000C803
	ds_write_b64 v3, v[202:203] offset:15104                   // 000000008C38: D89A3B00 0000CA03
	ds_write_b64 v3, v[204:205] offset:8576                    // 000000008C40: D89A2180 0000CC03
	ds_write_b64 v3, v[206:207] offset:17280                   // 000000008C48: D89A4380 0000CE03
	s_waitcnt lgkmcnt(0)                                       // 000000008C50: BF8CC07F
	s_barrier                                                  // 000000008C54: BF8A0000
	ds_read_b32 v64, v4 offset:2048                            // 000000008C58: D86C0800 40000004
	ds_read_b32 v65, v4 offset:6400                            // 000000008C60: D86C1900 41000004
	ds_read_b32 v66, v4 offset:2080                            // 000000008C68: D86C0820 42000004
	ds_read_b32 v67, v4 offset:6432                            // 000000008C70: D86C1920 43000004
	ds_read_b32 v68, v4 offset:2112                            // 000000008C78: D86C0840 44000004
	ds_read_b32 v69, v4 offset:6464                            // 000000008C80: D86C1940 45000004
	ds_read_b32 v70, v4 offset:2144                            // 000000008C88: D86C0860 46000004
	ds_read_b32 v71, v4 offset:6496                            // 000000008C90: D86C1960 47000004
	ds_read_b32 v72, v4 offset:10752                           // 000000008C98: D86C2A00 48000004
	ds_read_b32 v73, v4 offset:15104                           // 000000008CA0: D86C3B00 49000004
	ds_read_b32 v74, v4 offset:10784                           // 000000008CA8: D86C2A20 4A000004
	ds_read_b32 v75, v4 offset:15136                           // 000000008CB0: D86C3B20 4B000004
	ds_read_b32 v76, v4 offset:10816                           // 000000008CB8: D86C2A40 4C000004
	ds_read_b32 v77, v4 offset:15168                           // 000000008CC0: D86C3B40 4D000004
	ds_read_b32 v78, v4 offset:10848                           // 000000008CC8: D86C2A60 4E000004
	ds_read_b32 v79, v4 offset:15200                           // 000000008CD0: D86C3B60 4F000004
	s_waitcnt lgkmcnt(0)                                       // 000000008CD8: BF8CC07F
	s_mov_b64 exec, s[20:21]                                   // 000000008CDC: BEFE0114
	global_atomic_pk_add_f16 v80, v64, s[8:9]                  // 000000008CE0: DD388000 00084050
	s_mov_b64 exec, s[36:37]                                   // 000000008CE8: BEFE0124
	s_mov_b64 exec, s[20:21]                                   // 000000008CEC: BEFE0114
	global_atomic_pk_add_f16 v80, v65, s[8:9] offset:256       // 000000008CF0: DD388100 00084150
	s_mov_b64 exec, s[36:37]                                   // 000000008CF8: BEFE0124
	s_mov_b64 exec, s[22:23]                                   // 000000008CFC: BEFE0116
	global_atomic_pk_add_f16 v82, v66, s[8:9]                  // 000000008D00: DD388000 00084252
	s_mov_b64 exec, s[36:37]                                   // 000000008D08: BEFE0124
	s_mov_b64 exec, s[22:23]                                   // 000000008D0C: BEFE0116
	global_atomic_pk_add_f16 v82, v67, s[8:9] offset:256       // 000000008D10: DD388100 00084352
	s_mov_b64 exec, s[36:37]                                   // 000000008D18: BEFE0124
	s_mov_b64 exec, s[24:25]                                   // 000000008D1C: BEFE0118
	global_atomic_pk_add_f16 v84, v68, s[8:9]                  // 000000008D20: DD388000 00084454
	s_mov_b64 exec, s[36:37]                                   // 000000008D28: BEFE0124
	s_mov_b64 exec, s[24:25]                                   // 000000008D2C: BEFE0118
	global_atomic_pk_add_f16 v84, v69, s[8:9] offset:256       // 000000008D30: DD388100 00084554
	s_mov_b64 exec, s[36:37]                                   // 000000008D38: BEFE0124
	s_mov_b64 exec, s[26:27]                                   // 000000008D3C: BEFE011A
	global_atomic_pk_add_f16 v86, v70, s[8:9]                  // 000000008D40: DD388000 00084656
	s_mov_b64 exec, s[36:37]                                   // 000000008D48: BEFE0124
	s_mov_b64 exec, s[26:27]                                   // 000000008D4C: BEFE011A
	global_atomic_pk_add_f16 v86, v71, s[8:9] offset:256       // 000000008D50: DD388100 00084756
	s_mov_b64 exec, s[36:37]                                   // 000000008D58: BEFE0124
	s_mov_b64 exec, s[28:29]                                   // 000000008D5C: BEFE011C
	global_atomic_pk_add_f16 v88, v72, s[8:9]                  // 000000008D60: DD388000 00084858
	s_mov_b64 exec, s[36:37]                                   // 000000008D68: BEFE0124
	s_mov_b64 exec, s[28:29]                                   // 000000008D6C: BEFE011C
	global_atomic_pk_add_f16 v88, v73, s[8:9] offset:256       // 000000008D70: DD388100 00084958
	s_mov_b64 exec, s[36:37]                                   // 000000008D78: BEFE0124
	s_mov_b64 exec, s[30:31]                                   // 000000008D7C: BEFE011E
	global_atomic_pk_add_f16 v90, v74, s[8:9]                  // 000000008D80: DD388000 00084A5A
	s_mov_b64 exec, s[36:37]                                   // 000000008D88: BEFE0124
	s_mov_b64 exec, s[30:31]                                   // 000000008D8C: BEFE011E
	global_atomic_pk_add_f16 v90, v75, s[8:9] offset:256       // 000000008D90: DD388100 00084B5A
	s_mov_b64 exec, s[36:37]                                   // 000000008D98: BEFE0124
	s_mov_b64 exec, s[32:33]                                   // 000000008D9C: BEFE0120
	global_atomic_pk_add_f16 v92, v76, s[8:9]                  // 000000008DA0: DD388000 00084C5C
	s_mov_b64 exec, s[36:37]                                   // 000000008DA8: BEFE0124
	s_mov_b64 exec, s[32:33]                                   // 000000008DAC: BEFE0120
	global_atomic_pk_add_f16 v92, v77, s[8:9] offset:256       // 000000008DB0: DD388100 00084D5C
	s_mov_b64 exec, s[36:37]                                   // 000000008DB8: BEFE0124
	s_mov_b64 exec, s[34:35]                                   // 000000008DBC: BEFE0122
	global_atomic_pk_add_f16 v94, v78, s[8:9]                  // 000000008DC0: DD388000 00084E5E
	s_mov_b64 exec, s[36:37]                                   // 000000008DC8: BEFE0124
	s_mov_b64 exec, s[34:35]                                   // 000000008DCC: BEFE0122
	global_atomic_pk_add_f16 v94, v79, s[8:9] offset:256       // 000000008DD0: DD388100 00084F5E
	s_mov_b64 exec, s[36:37]                                   // 000000008DD8: BEFE0124
	s_add_u32 s8, s59, s8                                      // 000000008DDC: 8008083B
	s_addc_u32 s9, 0, s9                                       // 000000008DE0: 82090980
	s_addk_i32 s80, 0x100                                      // 000000008DE4: B7500100
	s_cmp_lt_i32 s80, s81                                      // 000000008DE8: BF045150
	s_cbranch_scc0 label_1A80                                  // 000000008DEC: BF840284
	s_waitcnt vmcnt(45)                                        // 000000008DF0: BF8C8F7D
	s_barrier                                                  // 000000008DF4: BF8A0000
	v_mfma_f32_16x16x32_fp8_fp8 v[224:227], a[128:129], v[128:129], 0// 000000008DF8: D3F300E0 0A030180
	v_mfma_f32_16x16x32_fp8_fp8 v[224:227], a[130:131], v[130:131], v[224:227]// 000000008E00: D3F300E0 0F830582
	buffer_load_dwordx4 a[0:3], v48, s[12:15], 0 offen         // 000000008E08: E05C1000 80830030
	v_mfma_f32_16x16x32_fp8_fp8 v[228:231], a[128:129], v[160:161], 0// 000000008E10: D3F300E4 0A034180
	v_mfma_f32_16x16x32_fp8_fp8 v[228:231], a[130:131], v[162:163], v[228:231]// 000000008E18: D3F300E4 0F934582
	v_mfma_f32_16x16x32_fp8_fp8 v[232:235], a[132:133], v[128:129], 0// 000000008E20: D3F300E8 0A030184
	v_mfma_f32_16x16x32_fp8_fp8 v[232:235], a[134:135], v[130:131], v[232:235]// 000000008E28: D3F300E8 0FA30586
	buffer_load_dwordx4 a[4:7], v49, s[12:15], 0 offen         // 000000008E30: E05C1000 80830431
	v_mfma_f32_16x16x32_fp8_fp8 v[236:239], a[132:133], v[160:161], 0// 000000008E38: D3F300EC 0A034184
	v_mfma_f32_16x16x32_fp8_fp8 v[236:239], a[134:135], v[162:163], v[236:239]// 000000008E40: D3F300EC 0FB34586
	v_mfma_f32_16x16x32_fp8_fp8 v[240:243], a[136:137], v[128:129], 0// 000000008E48: D3F300F0 0A030188
	v_mfma_f32_16x16x32_fp8_fp8 v[240:243], a[138:139], v[130:131], v[240:243]// 000000008E50: D3F300F0 0FC3058A
	buffer_load_dwordx4 a[8:11], v50, s[12:15], 0 offen        // 000000008E58: E05C1000 80830832
	v_mfma_f32_16x16x32_fp8_fp8 v[244:247], a[136:137], v[160:161], 0// 000000008E60: D3F300F4 0A034188
	v_mfma_f32_16x16x32_fp8_fp8 v[244:247], a[138:139], v[162:163], v[244:247]// 000000008E68: D3F300F4 0FD3458A
	v_mfma_f32_16x16x32_fp8_fp8 v[248:251], a[140:141], v[128:129], 0// 000000008E70: D3F300F8 0A03018C
	v_mfma_f32_16x16x32_fp8_fp8 v[248:251], a[142:143], v[130:131], v[248:251]// 000000008E78: D3F300F8 0FE3058E
	buffer_load_dwordx4 a[12:15], v51, s[12:15], 0 offen       // 000000008E80: E05C1000 80830C33
	s_add_u32 s12, s78, s12                                    // 000000008E88: 800C0C4E
	s_addc_u32 s13, 0, s13                                     // 000000008E8C: 820D0D80
	v_mfma_f32_16x16x32_fp8_fp8 v[252:255], a[140:141], v[160:161], 0// 000000008E90: D3F300FC 0A03418C
	v_mfma_f32_16x16x32_fp8_fp8 v[252:255], a[142:143], v[162:163], v[252:255]// 000000008E98: D3F300FC 0FF3458E
	s_waitcnt vmcnt(45)                                        // 000000008EA0: BF8C8F7D
	v_mfma_f32_16x16x32_fp8_fp8 v[224:227], a[144:145], v[132:133], v[224:227]// 000000008EA4: D3F300E0 0F830990
	v_mfma_f32_16x16x32_fp8_fp8 v[224:227], a[146:147], v[134:135], v[224:227]// 000000008EAC: D3F300E0 0F830D92
	buffer_load_dwordx4 a[16:19], v48, s[12:15], 0 offen       // 000000008EB4: E05C1000 80831030
	v_mfma_f32_16x16x32_fp8_fp8 v[228:231], a[144:145], v[164:165], v[228:231]// 000000008EBC: D3F300E4 0F934990
	v_mfma_f32_16x16x32_fp8_fp8 v[228:231], a[146:147], v[166:167], v[228:231]// 000000008EC4: D3F300E4 0F934D92
	v_mfma_f32_16x16x32_fp8_fp8 v[232:235], a[148:149], v[132:133], v[232:235]// 000000008ECC: D3F300E8 0FA30994
	v_mfma_f32_16x16x32_fp8_fp8 v[232:235], a[150:151], v[134:135], v[232:235]// 000000008ED4: D3F300E8 0FA30D96
	buffer_load_dwordx4 a[20:23], v49, s[12:15], 0 offen       // 000000008EDC: E05C1000 80831431
	v_mfma_f32_16x16x32_fp8_fp8 v[236:239], a[148:149], v[164:165], v[236:239]// 000000008EE4: D3F300EC 0FB34994
	v_mfma_f32_16x16x32_fp8_fp8 v[236:239], a[150:151], v[166:167], v[236:239]// 000000008EEC: D3F300EC 0FB34D96
	v_mfma_f32_16x16x32_fp8_fp8 v[240:243], a[152:153], v[132:133], v[240:243]// 000000008EF4: D3F300F0 0FC30998
	v_mfma_f32_16x16x32_fp8_fp8 v[240:243], a[154:155], v[134:135], v[240:243]// 000000008EFC: D3F300F0 0FC30D9A
	buffer_load_dwordx4 a[24:27], v50, s[12:15], 0 offen       // 000000008F04: E05C1000 80831832
	v_mfma_f32_16x16x32_fp8_fp8 v[244:247], a[152:153], v[164:165], v[244:247]// 000000008F0C: D3F300F4 0FD34998
	v_mfma_f32_16x16x32_fp8_fp8 v[244:247], a[154:155], v[166:167], v[244:247]// 000000008F14: D3F300F4 0FD34D9A
	v_mfma_f32_16x16x32_fp8_fp8 v[248:251], a[156:157], v[132:133], v[248:251]// 000000008F1C: D3F300F8 0FE3099C
	v_mfma_f32_16x16x32_fp8_fp8 v[248:251], a[158:159], v[134:135], v[248:251]// 000000008F24: D3F300F8 0FE30D9E
	buffer_load_dwordx4 a[28:31], v51, s[12:15], 0 offen       // 000000008F2C: E05C1000 80831C33
	s_add_u32 s12, s78, s12                                    // 000000008F34: 800C0C4E
	s_addc_u32 s13, 0, s13                                     // 000000008F38: 820D0D80
	v_mfma_f32_16x16x32_fp8_fp8 v[252:255], a[156:157], v[164:165], v[252:255]// 000000008F3C: D3F300FC 0FF3499C
	v_mfma_f32_16x16x32_fp8_fp8 v[252:255], a[158:159], v[166:167], v[252:255]// 000000008F44: D3F300FC 0FF34D9E
	s_waitcnt vmcnt(45)                                        // 000000008F4C: BF8C8F7D
	v_mfma_f32_16x16x32_fp8_fp8 v[224:227], a[160:161], v[136:137], v[224:227]// 000000008F50: D3F300E0 0F8311A0
	v_mfma_f32_16x16x32_fp8_fp8 v[224:227], a[162:163], v[138:139], v[224:227]// 000000008F58: D3F300E0 0F8315A2
	buffer_load_dwordx4 a[32:35], v48, s[12:15], 0 offen       // 000000008F60: E05C1000 80832030
	v_mfma_f32_16x16x32_fp8_fp8 v[228:231], a[160:161], v[168:169], v[228:231]// 000000008F68: D3F300E4 0F9351A0
	v_mfma_f32_16x16x32_fp8_fp8 v[228:231], a[162:163], v[170:171], v[228:231]// 000000008F70: D3F300E4 0F9355A2
	v_mfma_f32_16x16x32_fp8_fp8 v[232:235], a[164:165], v[136:137], v[232:235]// 000000008F78: D3F300E8 0FA311A4
	v_mfma_f32_16x16x32_fp8_fp8 v[232:235], a[166:167], v[138:139], v[232:235]// 000000008F80: D3F300E8 0FA315A6
	buffer_load_dwordx4 a[36:39], v49, s[12:15], 0 offen       // 000000008F88: E05C1000 80832431
	v_mfma_f32_16x16x32_fp8_fp8 v[236:239], a[164:165], v[168:169], v[236:239]// 000000008F90: D3F300EC 0FB351A4
	v_mfma_f32_16x16x32_fp8_fp8 v[236:239], a[166:167], v[170:171], v[236:239]// 000000008F98: D3F300EC 0FB355A6
	v_mfma_f32_16x16x32_fp8_fp8 v[240:243], a[168:169], v[136:137], v[240:243]// 000000008FA0: D3F300F0 0FC311A8
	v_mfma_f32_16x16x32_fp8_fp8 v[240:243], a[170:171], v[138:139], v[240:243]// 000000008FA8: D3F300F0 0FC315AA
	buffer_load_dwordx4 a[40:43], v50, s[12:15], 0 offen       // 000000008FB0: E05C1000 80832832
	v_mfma_f32_16x16x32_fp8_fp8 v[244:247], a[168:169], v[168:169], v[244:247]// 000000008FB8: D3F300F4 0FD351A8
	v_mfma_f32_16x16x32_fp8_fp8 v[244:247], a[170:171], v[170:171], v[244:247]// 000000008FC0: D3F300F4 0FD355AA
	v_mfma_f32_16x16x32_fp8_fp8 v[248:251], a[172:173], v[136:137], v[248:251]// 000000008FC8: D3F300F8 0FE311AC
	v_mfma_f32_16x16x32_fp8_fp8 v[248:251], a[174:175], v[138:139], v[248:251]// 000000008FD0: D3F300F8 0FE315AE
	buffer_load_dwordx4 a[44:47], v51, s[12:15], 0 offen       // 000000008FD8: E05C1000 80832C33
	s_add_u32 s12, s78, s12                                    // 000000008FE0: 800C0C4E
	s_addc_u32 s13, 0, s13                                     // 000000008FE4: 820D0D80
	v_mfma_f32_16x16x32_fp8_fp8 v[252:255], a[172:173], v[168:169], v[252:255]// 000000008FE8: D3F300FC 0FF351AC
	v_mfma_f32_16x16x32_fp8_fp8 v[252:255], a[174:175], v[170:171], v[252:255]// 000000008FF0: D3F300FC 0FF355AE
	s_waitcnt vmcnt(45)                                        // 000000008FF8: BF8C8F7D
	v_mfma_f32_16x16x32_fp8_fp8 v[224:227], a[176:177], v[140:141], v[224:227]// 000000008FFC: D3F300E0 0F8319B0
	v_mfma_f32_16x16x32_fp8_fp8 v[224:227], a[178:179], v[142:143], v[224:227]// 000000009004: D3F300E0 0F831DB2
	buffer_load_dwordx4 a[48:51], v48, s[12:15], 0 offen       // 00000000900C: E05C1000 80833030
	v_mfma_f32_16x16x32_fp8_fp8 v[228:231], a[176:177], v[172:173], v[228:231]// 000000009014: D3F300E4 0F9359B0
	v_mfma_f32_16x16x32_fp8_fp8 v[228:231], a[178:179], v[174:175], v[228:231]// 00000000901C: D3F300E4 0F935DB2
	v_mfma_f32_16x16x32_fp8_fp8 v[232:235], a[180:181], v[140:141], v[232:235]// 000000009024: D3F300E8 0FA319B4
	v_mfma_f32_16x16x32_fp8_fp8 v[232:235], a[182:183], v[142:143], v[232:235]// 00000000902C: D3F300E8 0FA31DB6
	buffer_load_dwordx4 a[52:55], v49, s[12:15], 0 offen       // 000000009034: E05C1000 80833431
	v_mfma_f32_16x16x32_fp8_fp8 v[236:239], a[180:181], v[172:173], v[236:239]// 00000000903C: D3F300EC 0FB359B4
	v_mfma_f32_16x16x32_fp8_fp8 v[236:239], a[182:183], v[174:175], v[236:239]// 000000009044: D3F300EC 0FB35DB6
	v_mfma_f32_16x16x32_fp8_fp8 v[240:243], a[184:185], v[140:141], v[240:243]// 00000000904C: D3F300F0 0FC319B8
	v_mfma_f32_16x16x32_fp8_fp8 v[240:243], a[186:187], v[142:143], v[240:243]// 000000009054: D3F300F0 0FC31DBA
	buffer_load_dwordx4 a[56:59], v50, s[12:15], 0 offen       // 00000000905C: E05C1000 80833832
	v_mfma_f32_16x16x32_fp8_fp8 v[244:247], a[184:185], v[172:173], v[244:247]// 000000009064: D3F300F4 0FD359B8
	v_mfma_f32_16x16x32_fp8_fp8 v[244:247], a[186:187], v[174:175], v[244:247]// 00000000906C: D3F300F4 0FD35DBA
	v_mfma_f32_16x16x32_fp8_fp8 v[248:251], a[188:189], v[140:141], v[248:251]// 000000009074: D3F300F8 0FE319BC
	v_mfma_f32_16x16x32_fp8_fp8 v[248:251], a[190:191], v[142:143], v[248:251]// 00000000907C: D3F300F8 0FE31DBE
	buffer_load_dwordx4 a[60:63], v51, s[12:15], 0 offen       // 000000009084: E05C1000 80833C33
	s_add_u32 s12, s78, s12                                    // 00000000908C: 800C0C4E
	s_addc_u32 s13, 0, s13                                     // 000000009090: 820D0D80
	v_mfma_f32_16x16x32_fp8_fp8 v[252:255], a[188:189], v[172:173], v[252:255]// 000000009094: D3F300FC 0FF359BC
	v_mfma_f32_16x16x32_fp8_fp8 v[252:255], a[190:191], v[174:175], v[252:255]// 00000000909C: D3F300FC 0FF35DBE
	s_waitcnt vmcnt(45)                                        // 0000000090A4: BF8C8F7D
	v_mfma_f32_16x16x32_fp8_fp8 v[224:227], a[192:193], v[144:145], v[224:227]// 0000000090A8: D3F300E0 0F8321C0
	v_mfma_f32_16x16x32_fp8_fp8 v[224:227], a[194:195], v[146:147], v[224:227]// 0000000090B0: D3F300E0 0F8325C2
	buffer_load_dwordx4 a[64:67], v48, s[12:15], 0 offen       // 0000000090B8: E05C1000 80834030
	v_mfma_f32_16x16x32_fp8_fp8 v[228:231], a[192:193], v[176:177], v[228:231]// 0000000090C0: D3F300E4 0F9361C0
	v_mfma_f32_16x16x32_fp8_fp8 v[228:231], a[194:195], v[178:179], v[228:231]// 0000000090C8: D3F300E4 0F9365C2
	v_mfma_f32_16x16x32_fp8_fp8 v[232:235], a[196:197], v[144:145], v[232:235]// 0000000090D0: D3F300E8 0FA321C4
	v_mfma_f32_16x16x32_fp8_fp8 v[232:235], a[198:199], v[146:147], v[232:235]// 0000000090D8: D3F300E8 0FA325C6
	buffer_load_dwordx4 a[68:71], v49, s[12:15], 0 offen       // 0000000090E0: E05C1000 80834431
	v_mfma_f32_16x16x32_fp8_fp8 v[236:239], a[196:197], v[176:177], v[236:239]// 0000000090E8: D3F300EC 0FB361C4
	v_mfma_f32_16x16x32_fp8_fp8 v[236:239], a[198:199], v[178:179], v[236:239]// 0000000090F0: D3F300EC 0FB365C6
	v_mfma_f32_16x16x32_fp8_fp8 v[240:243], a[200:201], v[144:145], v[240:243]// 0000000090F8: D3F300F0 0FC321C8
	v_mfma_f32_16x16x32_fp8_fp8 v[240:243], a[202:203], v[146:147], v[240:243]// 000000009100: D3F300F0 0FC325CA
	buffer_load_dwordx4 a[72:75], v50, s[12:15], 0 offen       // 000000009108: E05C1000 80834832
	v_mfma_f32_16x16x32_fp8_fp8 v[244:247], a[200:201], v[176:177], v[244:247]// 000000009110: D3F300F4 0FD361C8
	v_mfma_f32_16x16x32_fp8_fp8 v[244:247], a[202:203], v[178:179], v[244:247]// 000000009118: D3F300F4 0FD365CA
	v_mfma_f32_16x16x32_fp8_fp8 v[248:251], a[204:205], v[144:145], v[248:251]// 000000009120: D3F300F8 0FE321CC
	v_mfma_f32_16x16x32_fp8_fp8 v[248:251], a[206:207], v[146:147], v[248:251]// 000000009128: D3F300F8 0FE325CE
	buffer_load_dwordx4 a[76:79], v51, s[12:15], 0 offen       // 000000009130: E05C1000 80834C33
	s_add_u32 s12, s78, s12                                    // 000000009138: 800C0C4E
	s_addc_u32 s13, 0, s13                                     // 00000000913C: 820D0D80
	v_mfma_f32_16x16x32_fp8_fp8 v[252:255], a[204:205], v[176:177], v[252:255]// 000000009140: D3F300FC 0FF361CC
	v_mfma_f32_16x16x32_fp8_fp8 v[252:255], a[206:207], v[178:179], v[252:255]// 000000009148: D3F300FC 0FF365CE
	s_waitcnt vmcnt(45)                                        // 000000009150: BF8C8F7D
	v_mfma_f32_16x16x32_fp8_fp8 v[224:227], a[208:209], v[148:149], v[224:227]// 000000009154: D3F300E0 0F8329D0
	v_mfma_f32_16x16x32_fp8_fp8 v[224:227], a[210:211], v[150:151], v[224:227]// 00000000915C: D3F300E0 0F832DD2
	buffer_load_dwordx4 a[80:83], v48, s[12:15], 0 offen       // 000000009164: E05C1000 80835030
	v_mfma_f32_16x16x32_fp8_fp8 v[228:231], a[208:209], v[180:181], v[228:231]// 00000000916C: D3F300E4 0F9369D0
	v_mfma_f32_16x16x32_fp8_fp8 v[228:231], a[210:211], v[182:183], v[228:231]// 000000009174: D3F300E4 0F936DD2
	v_mfma_f32_16x16x32_fp8_fp8 v[232:235], a[212:213], v[148:149], v[232:235]// 00000000917C: D3F300E8 0FA329D4
	v_mfma_f32_16x16x32_fp8_fp8 v[232:235], a[214:215], v[150:151], v[232:235]// 000000009184: D3F300E8 0FA32DD6
	buffer_load_dwordx4 a[84:87], v49, s[12:15], 0 offen       // 00000000918C: E05C1000 80835431
	v_mfma_f32_16x16x32_fp8_fp8 v[236:239], a[212:213], v[180:181], v[236:239]// 000000009194: D3F300EC 0FB369D4
	v_mfma_f32_16x16x32_fp8_fp8 v[236:239], a[214:215], v[182:183], v[236:239]// 00000000919C: D3F300EC 0FB36DD6
	v_mfma_f32_16x16x32_fp8_fp8 v[240:243], a[216:217], v[148:149], v[240:243]// 0000000091A4: D3F300F0 0FC329D8
	v_mfma_f32_16x16x32_fp8_fp8 v[240:243], a[218:219], v[150:151], v[240:243]// 0000000091AC: D3F300F0 0FC32DDA
	buffer_load_dwordx4 a[88:91], v50, s[12:15], 0 offen       // 0000000091B4: E05C1000 80835832
	v_mfma_f32_16x16x32_fp8_fp8 v[244:247], a[216:217], v[180:181], v[244:247]// 0000000091BC: D3F300F4 0FD369D8
	v_mfma_f32_16x16x32_fp8_fp8 v[244:247], a[218:219], v[182:183], v[244:247]// 0000000091C4: D3F300F4 0FD36DDA
	v_mfma_f32_16x16x32_fp8_fp8 v[248:251], a[220:221], v[148:149], v[248:251]// 0000000091CC: D3F300F8 0FE329DC
	v_mfma_f32_16x16x32_fp8_fp8 v[248:251], a[222:223], v[150:151], v[248:251]// 0000000091D4: D3F300F8 0FE32DDE
	buffer_load_dwordx4 a[92:95], v51, s[12:15], 0 offen       // 0000000091DC: E05C1000 80835C33
	s_add_u32 s12, s78, s12                                    // 0000000091E4: 800C0C4E
	s_addc_u32 s13, 0, s13                                     // 0000000091E8: 820D0D80
	v_mfma_f32_16x16x32_fp8_fp8 v[252:255], a[220:221], v[180:181], v[252:255]// 0000000091EC: D3F300FC 0FF369DC
	v_mfma_f32_16x16x32_fp8_fp8 v[252:255], a[222:223], v[182:183], v[252:255]// 0000000091F4: D3F300FC 0FF36DDE
	s_waitcnt vmcnt(45)                                        // 0000000091FC: BF8C8F7D
	v_mfma_f32_16x16x32_fp8_fp8 v[224:227], a[224:225], v[152:153], v[224:227]// 000000009200: D3F300E0 0F8331E0
	v_mfma_f32_16x16x32_fp8_fp8 v[224:227], a[226:227], v[154:155], v[224:227]// 000000009208: D3F300E0 0F8335E2
	buffer_load_dwordx4 a[96:99], v48, s[12:15], 0 offen       // 000000009210: E05C1000 80836030
	v_mfma_f32_16x16x32_fp8_fp8 v[228:231], a[224:225], v[184:185], v[228:231]// 000000009218: D3F300E4 0F9371E0
	v_mfma_f32_16x16x32_fp8_fp8 v[228:231], a[226:227], v[186:187], v[228:231]// 000000009220: D3F300E4 0F9375E2
	v_mfma_f32_16x16x32_fp8_fp8 v[232:235], a[228:229], v[152:153], v[232:235]// 000000009228: D3F300E8 0FA331E4
	v_mfma_f32_16x16x32_fp8_fp8 v[232:235], a[230:231], v[154:155], v[232:235]// 000000009230: D3F300E8 0FA335E6
	buffer_load_dwordx4 a[100:103], v49, s[12:15], 0 offen     // 000000009238: E05C1000 80836431
	v_mfma_f32_16x16x32_fp8_fp8 v[236:239], a[228:229], v[184:185], v[236:239]// 000000009240: D3F300EC 0FB371E4
	v_mfma_f32_16x16x32_fp8_fp8 v[236:239], a[230:231], v[186:187], v[236:239]// 000000009248: D3F300EC 0FB375E6
	v_mfma_f32_16x16x32_fp8_fp8 v[240:243], a[232:233], v[152:153], v[240:243]// 000000009250: D3F300F0 0FC331E8
	v_mfma_f32_16x16x32_fp8_fp8 v[240:243], a[234:235], v[154:155], v[240:243]// 000000009258: D3F300F0 0FC335EA
	buffer_load_dwordx4 a[104:107], v50, s[12:15], 0 offen     // 000000009260: E05C1000 80836832
	v_mfma_f32_16x16x32_fp8_fp8 v[244:247], a[232:233], v[184:185], v[244:247]// 000000009268: D3F300F4 0FD371E8
	v_mfma_f32_16x16x32_fp8_fp8 v[244:247], a[234:235], v[186:187], v[244:247]// 000000009270: D3F300F4 0FD375EA
	v_mfma_f32_16x16x32_fp8_fp8 v[248:251], a[236:237], v[152:153], v[248:251]// 000000009278: D3F300F8 0FE331EC
	v_mfma_f32_16x16x32_fp8_fp8 v[248:251], a[238:239], v[154:155], v[248:251]// 000000009280: D3F300F8 0FE335EE
	buffer_load_dwordx4 a[108:111], v51, s[12:15], 0 offen     // 000000009288: E05C1000 80836C33
	s_add_u32 s12, s78, s12                                    // 000000009290: 800C0C4E
	s_addc_u32 s13, 0, s13                                     // 000000009294: 820D0D80
	v_mfma_f32_16x16x32_fp8_fp8 v[252:255], a[236:237], v[184:185], v[252:255]// 000000009298: D3F300FC 0FF371EC
	v_mfma_f32_16x16x32_fp8_fp8 v[252:255], a[238:239], v[186:187], v[252:255]// 0000000092A0: D3F300FC 0FF375EE
	s_waitcnt vmcnt(44)                                        // 0000000092A8: BF8C8F7C
	v_mfma_f32_16x16x32_fp8_fp8 v[224:227], a[240:241], v[156:157], v[224:227]// 0000000092AC: D3F300E0 0F8339F0
	v_mfma_f32_16x16x32_fp8_fp8 v[224:227], a[242:243], v[158:159], v[224:227]// 0000000092B4: D3F300E0 0F833DF2
	buffer_load_dwordx4 a[112:115], v48, s[12:15], 0 offen     // 0000000092BC: E05C1000 80837030
	v_mfma_f32_16x16x32_fp8_fp8 v[228:231], a[240:241], v[188:189], v[228:231]// 0000000092C4: D3F300E4 0F9379F0
	v_mfma_f32_16x16x32_fp8_fp8 v[228:231], a[242:243], v[190:191], v[228:231]// 0000000092CC: D3F300E4 0F937DF2
	buffer_load_dword v12, v5, s[16:19], 0 offen               // 0000000092D4: E0501000 80040C05
	v_mfma_f32_16x16x32_fp8_fp8 v[232:235], a[244:245], v[156:157], v[232:235]// 0000000092DC: D3F300E8 0FA339F4
	v_mfma_f32_16x16x32_fp8_fp8 v[232:235], a[246:247], v[158:159], v[232:235]// 0000000092E4: D3F300E8 0FA33DF6
	buffer_load_dwordx4 a[116:119], v49, s[12:15], 0 offen     // 0000000092EC: E05C1000 80837431
	v_mfma_f32_16x16x32_fp8_fp8 v[236:239], a[244:245], v[188:189], v[236:239]// 0000000092F4: D3F300EC 0FB379F4
	v_mfma_f32_16x16x32_fp8_fp8 v[236:239], a[246:247], v[190:191], v[236:239]// 0000000092FC: D3F300EC 0FB37DF6
	v_mfma_f32_16x16x32_fp8_fp8 v[240:243], a[248:249], v[156:157], v[240:243]// 000000009304: D3F300F0 0FC339F8
	v_mfma_f32_16x16x32_fp8_fp8 v[240:243], a[250:251], v[158:159], v[240:243]// 00000000930C: D3F300F0 0FC33DFA
	buffer_load_dwordx4 a[120:123], v50, s[12:15], 0 offen     // 000000009314: E05C1000 80837832
	v_mfma_f32_16x16x32_fp8_fp8 v[244:247], a[248:249], v[188:189], v[244:247]// 00000000931C: D3F300F4 0FD379F8
	v_mfma_f32_16x16x32_fp8_fp8 v[244:247], a[250:251], v[190:191], v[244:247]// 000000009324: D3F300F4 0FD37DFA
	v_mfma_f32_16x16x32_fp8_fp8 v[248:251], a[252:253], v[156:157], v[248:251]// 00000000932C: D3F300F8 0FE339FC
	v_mfma_f32_16x16x32_fp8_fp8 v[248:251], a[254:255], v[158:159], v[248:251]// 000000009334: D3F300F8 0FE33DFE
	buffer_load_dwordx4 a[124:127], v51, s[12:15], 0 offen     // 00000000933C: E05C1000 80837C33
	v_mfma_f32_16x16x32_fp8_fp8 v[252:255], a[252:253], v[188:189], v[252:255]// 000000009344: D3F300FC 0FF379FC
	v_mfma_f32_16x16x32_fp8_fp8 v[252:255], a[254:255], v[190:191], v[252:255]// 00000000934C: D3F300FC 0FF37DFE
	s_add_u32 s60, 0x200, s80                                  // 000000009354: 803C50FF 00000200
	s_cmp_lt_u32 s60, s81                                      // 00000000935C: BF0A513C
	s_cselect_b32 s56, s56, 0                                  // 000000009360: 85388038
	s_cselect_b32 s78, s78, 0                                  // 000000009364: 854E804E
	s_cselect_b32 s79, s79, 0                                  // 000000009368: 854F804F
	s_add_u32 s12, s56, s12                                    // 00000000936C: 800C0C38
	s_addc_u32 s13, 0, s13                                     // 000000009370: 820D0D80
	s_add_u32 s16, s79, s16                                    // 000000009374: 8010104F
	s_addc_u32 s17, 0, s17                                     // 000000009378: 82111180
	v_mov_b32_e32 v44, v24                                     // 00000000937C: 7E580318
	v_mov_b32_e32 v46, v20                                     // 000000009380: 7E5C0314
	v_mov_b32_e32 v45, v44                                     // 000000009384: 7E5A032C
	v_mov_b32_e32 v47, v46                                     // 000000009388: 7E5E032E
	v_pk_mul_f32 v[224:225], v[44:45], v[224:225]              // 00000000938C: D3B140E0 1803C12C
	v_pk_mul_f32 v[226:227], v[44:45], v[226:227]              // 000000009394: D3B140E2 1803C52C
	v_mul_f32_dpp v224, v13, v224 row_newbcast:0 row_mask:0xf bank_mask:0xf// 00000000939C: 0BC1C0FA FF01500D
	v_mul_f32_dpp v225, v13, v225 row_newbcast:1 row_mask:0xf bank_mask:0xf// 0000000093A4: 0BC3C2FA FF01510D
	v_mul_f32_dpp v226, v13, v226 row_newbcast:2 row_mask:0xf bank_mask:0xf// 0000000093AC: 0BC5C4FA FF01520D
	v_mul_f32_dpp v227, v13, v227 row_newbcast:3 row_mask:0xf bank_mask:0xf// 0000000093B4: 0BC7C6FA FF01530D
	v_pk_mul_f32 v[224:225], v[46:47], v[224:225]              // 0000000093BC: D3B140E0 1803C12E
	v_pk_mul_f32 v[226:227], v[46:47], v[226:227]              // 0000000093C4: D3B140E2 1803C52E
	v_pk_mul_f32 v[232:233], v[44:45], v[232:233]              // 0000000093CC: D3B140E8 1803D12C
	v_pk_mul_f32 v[234:235], v[44:45], v[234:235]              // 0000000093D4: D3B140EA 1803D52C
	v_mul_f32_dpp v232, v13, v232 row_newbcast:4 row_mask:0xf bank_mask:0xf// 0000000093DC: 0BD1D0FA FF01540D
	v_mul_f32_dpp v233, v13, v233 row_newbcast:5 row_mask:0xf bank_mask:0xf// 0000000093E4: 0BD3D2FA FF01550D
	v_mul_f32_dpp v234, v13, v234 row_newbcast:6 row_mask:0xf bank_mask:0xf// 0000000093EC: 0BD5D4FA FF01560D
	v_mul_f32_dpp v235, v13, v235 row_newbcast:7 row_mask:0xf bank_mask:0xf// 0000000093F4: 0BD7D6FA FF01570D
	v_pk_mul_f32 v[232:233], v[46:47], v[232:233]              // 0000000093FC: D3B140E8 1803D12E
	v_pk_mul_f32 v[234:235], v[46:47], v[234:235]              // 000000009404: D3B140EA 1803D52E
	v_pk_mul_f32 v[240:241], v[44:45], v[240:241]              // 00000000940C: D3B140F0 1803E12C
	v_pk_mul_f32 v[242:243], v[44:45], v[242:243]              // 000000009414: D3B140F2 1803E52C
	v_mul_f32_dpp v240, v13, v240 row_newbcast:8 row_mask:0xf bank_mask:0xf// 00000000941C: 0BE1E0FA FF01580D
	v_mul_f32_dpp v241, v13, v241 row_newbcast:9 row_mask:0xf bank_mask:0xf// 000000009424: 0BE3E2FA FF01590D
	v_mul_f32_dpp v242, v13, v242 row_newbcast:10 row_mask:0xf bank_mask:0xf// 00000000942C: 0BE5E4FA FF015A0D
	v_mul_f32_dpp v243, v13, v243 row_newbcast:11 row_mask:0xf bank_mask:0xf// 000000009434: 0BE7E6FA FF015B0D
	v_pk_mul_f32 v[240:241], v[46:47], v[240:241]              // 00000000943C: D3B140F0 1803E12E
	v_pk_mul_f32 v[242:243], v[46:47], v[242:243]              // 000000009444: D3B140F2 1803E52E
	v_pk_mul_f32 v[248:249], v[44:45], v[248:249]              // 00000000944C: D3B140F8 1803F12C
	v_pk_mul_f32 v[250:251], v[44:45], v[250:251]              // 000000009454: D3B140FA 1803F52C
	v_mul_f32_dpp v248, v13, v248 row_newbcast:12 row_mask:0xf bank_mask:0xf// 00000000945C: 0BF1F0FA FF015C0D
	v_mul_f32_dpp v249, v13, v249 row_newbcast:13 row_mask:0xf bank_mask:0xf// 000000009464: 0BF3F2FA FF015D0D
	v_mul_f32_dpp v250, v13, v250 row_newbcast:14 row_mask:0xf bank_mask:0xf// 00000000946C: 0BF5F4FA FF015E0D
	v_mul_f32_dpp v251, v13, v251 row_newbcast:15 row_mask:0xf bank_mask:0xf// 000000009474: 0BF7F6FA FF015F0D
	v_pk_mul_f32 v[248:249], v[46:47], v[248:249]              // 00000000947C: D3B140F8 1803F12E
	v_pk_mul_f32 v[250:251], v[46:47], v[250:251]              // 000000009484: D3B140FA 1803F52E
	v_mov_b32_e32 v44, v25                                     // 00000000948C: 7E580319
	v_mov_b32_e32 v46, v21                                     // 000000009490: 7E5C0315
	v_mov_b32_e32 v45, v44                                     // 000000009494: 7E5A032C
	v_mov_b32_e32 v47, v46                                     // 000000009498: 7E5E032E
	v_pk_mul_f32 v[228:229], v[44:45], v[228:229]              // 00000000949C: D3B140E4 1803C92C
	v_pk_mul_f32 v[230:231], v[44:45], v[230:231]              // 0000000094A4: D3B140E6 1803CD2C
	v_mul_f32_dpp v228, v13, v228 row_newbcast:0 row_mask:0xf bank_mask:0xf// 0000000094AC: 0BC9C8FA FF01500D
	v_mul_f32_dpp v229, v13, v229 row_newbcast:1 row_mask:0xf bank_mask:0xf// 0000000094B4: 0BCBCAFA FF01510D
	v_mul_f32_dpp v230, v13, v230 row_newbcast:2 row_mask:0xf bank_mask:0xf// 0000000094BC: 0BCDCCFA FF01520D
	v_mul_f32_dpp v231, v13, v231 row_newbcast:3 row_mask:0xf bank_mask:0xf// 0000000094C4: 0BCFCEFA FF01530D
	v_pk_mul_f32 v[228:229], v[46:47], v[228:229]              // 0000000094CC: D3B140E4 1803C92E
	v_pk_mul_f32 v[230:231], v[46:47], v[230:231]              // 0000000094D4: D3B140E6 1803CD2E
	v_pk_mul_f32 v[236:237], v[44:45], v[236:237]              // 0000000094DC: D3B140EC 1803D92C
	v_pk_mul_f32 v[238:239], v[44:45], v[238:239]              // 0000000094E4: D3B140EE 1803DD2C
	v_mul_f32_dpp v236, v13, v236 row_newbcast:4 row_mask:0xf bank_mask:0xf// 0000000094EC: 0BD9D8FA FF01540D
	v_mul_f32_dpp v237, v13, v237 row_newbcast:5 row_mask:0xf bank_mask:0xf// 0000000094F4: 0BDBDAFA FF01550D
	v_mul_f32_dpp v238, v13, v238 row_newbcast:6 row_mask:0xf bank_mask:0xf// 0000000094FC: 0BDDDCFA FF01560D
	v_mul_f32_dpp v239, v13, v239 row_newbcast:7 row_mask:0xf bank_mask:0xf// 000000009504: 0BDFDEFA FF01570D
	v_pk_mul_f32 v[236:237], v[46:47], v[236:237]              // 00000000950C: D3B140EC 1803D92E
	v_pk_mul_f32 v[238:239], v[46:47], v[238:239]              // 000000009514: D3B140EE 1803DD2E
	v_pk_mul_f32 v[244:245], v[44:45], v[244:245]              // 00000000951C: D3B140F4 1803E92C
	v_pk_mul_f32 v[246:247], v[44:45], v[246:247]              // 000000009524: D3B140F6 1803ED2C
	v_mul_f32_dpp v244, v13, v244 row_newbcast:8 row_mask:0xf bank_mask:0xf// 00000000952C: 0BE9E8FA FF01580D
	v_mul_f32_dpp v245, v13, v245 row_newbcast:9 row_mask:0xf bank_mask:0xf// 000000009534: 0BEBEAFA FF01590D
	v_mul_f32_dpp v246, v13, v246 row_newbcast:10 row_mask:0xf bank_mask:0xf// 00000000953C: 0BEDECFA FF015A0D
	v_mul_f32_dpp v247, v13, v247 row_newbcast:11 row_mask:0xf bank_mask:0xf// 000000009544: 0BEFEEFA FF015B0D
	v_pk_mul_f32 v[244:245], v[46:47], v[244:245]              // 00000000954C: D3B140F4 1803E92E
	v_pk_mul_f32 v[246:247], v[46:47], v[246:247]              // 000000009554: D3B140F6 1803ED2E
	v_pk_mul_f32 v[252:253], v[44:45], v[252:253]              // 00000000955C: D3B140FC 1803F92C
	v_pk_mul_f32 v[254:255], v[44:45], v[254:255]              // 000000009564: D3B140FE 1803FD2C
	v_mul_f32_dpp v252, v13, v252 row_newbcast:12 row_mask:0xf bank_mask:0xf// 00000000956C: 0BF9F8FA FF015C0D
	v_mul_f32_dpp v253, v13, v253 row_newbcast:13 row_mask:0xf bank_mask:0xf// 000000009574: 0BFBFAFA FF015D0D
	v_mul_f32_dpp v254, v13, v254 row_newbcast:14 row_mask:0xf bank_mask:0xf// 00000000957C: 0BFDFCFA FF015E0D
	v_mul_f32_dpp v255, v13, v255 row_newbcast:15 row_mask:0xf bank_mask:0xf// 000000009584: 0BFFFEFA FF015F0D
	v_pk_mul_f32 v[252:253], v[46:47], v[252:253]              // 00000000958C: D3B140FC 1803F92E
	v_pk_mul_f32 v[254:255], v[46:47], v[254:255]              // 000000009594: D3B140FE 1803FD2E
	v_cvt_pkrtz_f16_f32 v224, v224, v225                       // 00000000959C: D29600E0 0003C3E0
	v_cvt_pkrtz_f16_f32 v225, v226, v227                       // 0000000095A4: D29600E1 0003C7E2
	v_cvt_pkrtz_f16_f32 v226, v228, v229                       // 0000000095AC: D29600E2 0003CBE4
	v_cvt_pkrtz_f16_f32 v227, v230, v231                       // 0000000095B4: D29600E3 0003CFE6
	v_cvt_pkrtz_f16_f32 v228, v232, v233                       // 0000000095BC: D29600E4 0003D3E8
	v_cvt_pkrtz_f16_f32 v229, v234, v235                       // 0000000095C4: D29600E5 0003D7EA
	v_cvt_pkrtz_f16_f32 v230, v236, v237                       // 0000000095CC: D29600E6 0003DBEC
	v_cvt_pkrtz_f16_f32 v231, v238, v239                       // 0000000095D4: D29600E7 0003DFEE
	v_cvt_pkrtz_f16_f32 v232, v240, v241                       // 0000000095DC: D29600E8 0003E3F0
	v_cvt_pkrtz_f16_f32 v233, v242, v243                       // 0000000095E4: D29600E9 0003E7F2
	v_cvt_pkrtz_f16_f32 v234, v244, v245                       // 0000000095EC: D29600EA 0003EBF4
	v_cvt_pkrtz_f16_f32 v235, v246, v247                       // 0000000095F4: D29600EB 0003EFF6
	v_cvt_pkrtz_f16_f32 v236, v248, v249                       // 0000000095FC: D29600EC 0003F3F8
	v_cvt_pkrtz_f16_f32 v237, v250, v251                       // 000000009604: D29600ED 0003F7FA
	v_cvt_pkrtz_f16_f32 v238, v252, v253                       // 00000000960C: D29600EE 0003FBFC
	v_cvt_pkrtz_f16_f32 v239, v254, v255                       // 000000009614: D29600EF 0003FFFE
	ds_write_b64 v3, v[224:225] offset:2048                    // 00000000961C: D89A0800 0000E003
	ds_write_b64 v3, v[226:227] offset:10752                   // 000000009624: D89A2A00 0000E203
	ds_write_b64 v3, v[228:229] offset:4224                    // 00000000962C: D89A1080 0000E403
	ds_write_b64 v3, v[230:231] offset:12928                   // 000000009634: D89A3280 0000E603
	ds_write_b64 v3, v[232:233] offset:6400                    // 00000000963C: D89A1900 0000E803
	ds_write_b64 v3, v[234:235] offset:15104                   // 000000009644: D89A3B00 0000EA03
	ds_write_b64 v3, v[236:237] offset:8576                    // 00000000964C: D89A2180 0000EC03
	ds_write_b64 v3, v[238:239] offset:17280                   // 000000009654: D89A4380 0000EE03
	s_waitcnt lgkmcnt(0)                                       // 00000000965C: BF8CC07F
	s_barrier                                                  // 000000009660: BF8A0000
	ds_read_b32 v64, v4 offset:2048                            // 000000009664: D86C0800 40000004
	ds_read_b32 v65, v4 offset:6400                            // 00000000966C: D86C1900 41000004
	ds_read_b32 v66, v4 offset:2080                            // 000000009674: D86C0820 42000004
	ds_read_b32 v67, v4 offset:6432                            // 00000000967C: D86C1920 43000004
	ds_read_b32 v68, v4 offset:2112                            // 000000009684: D86C0840 44000004
	ds_read_b32 v69, v4 offset:6464                            // 00000000968C: D86C1940 45000004
	ds_read_b32 v70, v4 offset:2144                            // 000000009694: D86C0860 46000004
	ds_read_b32 v71, v4 offset:6496                            // 00000000969C: D86C1960 47000004
	ds_read_b32 v72, v4 offset:10752                           // 0000000096A4: D86C2A00 48000004
	ds_read_b32 v73, v4 offset:15104                           // 0000000096AC: D86C3B00 49000004
	ds_read_b32 v74, v4 offset:10784                           // 0000000096B4: D86C2A20 4A000004
	ds_read_b32 v75, v4 offset:15136                           // 0000000096BC: D86C3B20 4B000004
	ds_read_b32 v76, v4 offset:10816                           // 0000000096C4: D86C2A40 4C000004
	ds_read_b32 v77, v4 offset:15168                           // 0000000096CC: D86C3B40 4D000004
	ds_read_b32 v78, v4 offset:10848                           // 0000000096D4: D86C2A60 4E000004
	ds_read_b32 v79, v4 offset:15200                           // 0000000096DC: D86C3B60 4F000004
	s_waitcnt lgkmcnt(0)                                       // 0000000096E4: BF8CC07F
	s_mov_b64 exec, s[20:21]                                   // 0000000096E8: BEFE0114
	global_atomic_pk_add_f16 v80, v64, s[8:9]                  // 0000000096EC: DD388000 00084050
	s_mov_b64 exec, s[36:37]                                   // 0000000096F4: BEFE0124
	s_mov_b64 exec, s[20:21]                                   // 0000000096F8: BEFE0114
	global_atomic_pk_add_f16 v80, v65, s[8:9] offset:256       // 0000000096FC: DD388100 00084150
	s_mov_b64 exec, s[36:37]                                   // 000000009704: BEFE0124
	s_mov_b64 exec, s[22:23]                                   // 000000009708: BEFE0116
	global_atomic_pk_add_f16 v82, v66, s[8:9]                  // 00000000970C: DD388000 00084252
	s_mov_b64 exec, s[36:37]                                   // 000000009714: BEFE0124
	s_mov_b64 exec, s[22:23]                                   // 000000009718: BEFE0116
	global_atomic_pk_add_f16 v82, v67, s[8:9] offset:256       // 00000000971C: DD388100 00084352
	s_mov_b64 exec, s[36:37]                                   // 000000009724: BEFE0124
	s_mov_b64 exec, s[24:25]                                   // 000000009728: BEFE0118
	global_atomic_pk_add_f16 v84, v68, s[8:9]                  // 00000000972C: DD388000 00084454
	s_mov_b64 exec, s[36:37]                                   // 000000009734: BEFE0124
	s_mov_b64 exec, s[24:25]                                   // 000000009738: BEFE0118
	global_atomic_pk_add_f16 v84, v69, s[8:9] offset:256       // 00000000973C: DD388100 00084554
	s_mov_b64 exec, s[36:37]                                   // 000000009744: BEFE0124
	s_mov_b64 exec, s[26:27]                                   // 000000009748: BEFE011A
	global_atomic_pk_add_f16 v86, v70, s[8:9]                  // 00000000974C: DD388000 00084656
	s_mov_b64 exec, s[36:37]                                   // 000000009754: BEFE0124
	s_mov_b64 exec, s[26:27]                                   // 000000009758: BEFE011A
	global_atomic_pk_add_f16 v86, v71, s[8:9] offset:256       // 00000000975C: DD388100 00084756
	s_mov_b64 exec, s[36:37]                                   // 000000009764: BEFE0124
	s_mov_b64 exec, s[28:29]                                   // 000000009768: BEFE011C
	global_atomic_pk_add_f16 v88, v72, s[8:9]                  // 00000000976C: DD388000 00084858
	s_mov_b64 exec, s[36:37]                                   // 000000009774: BEFE0124
	s_mov_b64 exec, s[28:29]                                   // 000000009778: BEFE011C
	global_atomic_pk_add_f16 v88, v73, s[8:9] offset:256       // 00000000977C: DD388100 00084958
	s_mov_b64 exec, s[36:37]                                   // 000000009784: BEFE0124
	s_mov_b64 exec, s[30:31]                                   // 000000009788: BEFE011E
	global_atomic_pk_add_f16 v90, v74, s[8:9]                  // 00000000978C: DD388000 00084A5A
	s_mov_b64 exec, s[36:37]                                   // 000000009794: BEFE0124
	s_mov_b64 exec, s[30:31]                                   // 000000009798: BEFE011E
	global_atomic_pk_add_f16 v90, v75, s[8:9] offset:256       // 00000000979C: DD388100 00084B5A
	s_mov_b64 exec, s[36:37]                                   // 0000000097A4: BEFE0124
	s_mov_b64 exec, s[32:33]                                   // 0000000097A8: BEFE0120
	global_atomic_pk_add_f16 v92, v76, s[8:9]                  // 0000000097AC: DD388000 00084C5C
	s_mov_b64 exec, s[36:37]                                   // 0000000097B4: BEFE0124
	s_mov_b64 exec, s[32:33]                                   // 0000000097B8: BEFE0120
	global_atomic_pk_add_f16 v92, v77, s[8:9] offset:256       // 0000000097BC: DD388100 00084D5C
	s_mov_b64 exec, s[36:37]                                   // 0000000097C4: BEFE0124
	s_mov_b64 exec, s[34:35]                                   // 0000000097C8: BEFE0122
	global_atomic_pk_add_f16 v94, v78, s[8:9]                  // 0000000097CC: DD388000 00084E5E
	s_mov_b64 exec, s[36:37]                                   // 0000000097D4: BEFE0124
	s_mov_b64 exec, s[34:35]                                   // 0000000097D8: BEFE0122
	global_atomic_pk_add_f16 v94, v79, s[8:9] offset:256       // 0000000097DC: DD388100 00084F5E
	s_mov_b64 exec, s[36:37]                                   // 0000000097E4: BEFE0124
	s_add_u32 s8, s59, s8                                      // 0000000097E8: 8008083B
	s_addc_u32 s9, 0, s9                                       // 0000000097EC: 82090980
	s_addk_i32 s80, 0x100                                      // 0000000097F0: B7500100
	s_cmp_lt_i32 s80, s81                                      // 0000000097F4: BF045150
	s_cbranch_scc0 label_1A80                                  // 0000000097F8: BF840001
	s_branch label_1579                                        // 0000000097FC: BF82FAF9

0000000000009800 <label_1A80>:
	s_nop 0                                                    // 000000009800: BF800000
	s_nop 0                                                    // 000000009804: BF800000
	s_branch label_30F3                                        // 000000009808: BF821670

000000000000980c <label_1A83>:
	v_rcp_f32_e32 v44, v24                                     // 00000000980C: 7E584518
	v_rcp_f32_e32 v46, v25                                     // 000000009810: 7E5C4519
	v_mov_b32_e32 v45, v44                                     // 000000009814: 7E5A032C
	v_mov_b32_e32 v47, v46                                     // 000000009818: 7E5E032E
	v_pk_mul_f32 v[128:129], v[44:45], v[128:129]              // 00000000981C: D3B14080 1803012C
	v_pk_mul_f32 v[130:131], v[44:45], v[130:131]              // 000000009824: D3B14082 1803052C
	v_pk_mul_f32 v[132:133], v[46:47], v[132:133]              // 00000000982C: D3B14084 1803092E
	v_pk_mul_f32 v[134:135], v[46:47], v[134:135]              // 000000009834: D3B14086 18030D2E
	v_pk_mul_f32 v[136:137], v[44:45], v[136:137]              // 00000000983C: D3B14088 1803112C
	v_pk_mul_f32 v[138:139], v[44:45], v[138:139]              // 000000009844: D3B1408A 1803152C
	v_pk_mul_f32 v[140:141], v[46:47], v[140:141]              // 00000000984C: D3B1408C 1803192E
	v_pk_mul_f32 v[142:143], v[46:47], v[142:143]              // 000000009854: D3B1408E 18031D2E
	v_pk_mul_f32 v[144:145], v[44:45], v[144:145]              // 00000000985C: D3B14090 1803212C
	v_pk_mul_f32 v[146:147], v[44:45], v[146:147]              // 000000009864: D3B14092 1803252C
	v_pk_mul_f32 v[148:149], v[46:47], v[148:149]              // 00000000986C: D3B14094 1803292E
	v_pk_mul_f32 v[150:151], v[46:47], v[150:151]              // 000000009874: D3B14096 18032D2E
	v_pk_mul_f32 v[152:153], v[44:45], v[152:153]              // 00000000987C: D3B14098 1803312C
	v_pk_mul_f32 v[154:155], v[44:45], v[154:155]              // 000000009884: D3B1409A 1803352C
	v_pk_mul_f32 v[156:157], v[46:47], v[156:157]              // 00000000988C: D3B1409C 1803392E
	v_pk_mul_f32 v[158:159], v[46:47], v[158:159]              // 000000009894: D3B1409E 18033D2E
	v_pk_mul_f32 v[160:161], v[44:45], v[160:161]              // 00000000989C: D3B140A0 1803412C
	v_pk_mul_f32 v[162:163], v[44:45], v[162:163]              // 0000000098A4: D3B140A2 1803452C
	v_pk_mul_f32 v[164:165], v[46:47], v[164:165]              // 0000000098AC: D3B140A4 1803492E
	v_pk_mul_f32 v[166:167], v[46:47], v[166:167]              // 0000000098B4: D3B140A6 18034D2E
	v_pk_mul_f32 v[168:169], v[44:45], v[168:169]              // 0000000098BC: D3B140A8 1803512C
	v_pk_mul_f32 v[170:171], v[44:45], v[170:171]              // 0000000098C4: D3B140AA 1803552C
	v_pk_mul_f32 v[172:173], v[46:47], v[172:173]              // 0000000098CC: D3B140AC 1803592E
	v_pk_mul_f32 v[174:175], v[46:47], v[174:175]              // 0000000098D4: D3B140AE 18035D2E
	v_pk_mul_f32 v[176:177], v[44:45], v[176:177]              // 0000000098DC: D3B140B0 1803612C
	v_pk_mul_f32 v[178:179], v[44:45], v[178:179]              // 0000000098E4: D3B140B2 1803652C
	v_pk_mul_f32 v[180:181], v[46:47], v[180:181]              // 0000000098EC: D3B140B4 1803692E
	v_pk_mul_f32 v[182:183], v[46:47], v[182:183]              // 0000000098F4: D3B140B6 18036D2E
	v_pk_mul_f32 v[184:185], v[44:45], v[184:185]              // 0000000098FC: D3B140B8 1803712C
	v_pk_mul_f32 v[186:187], v[44:45], v[186:187]              // 000000009904: D3B140BA 1803752C
	v_pk_mul_f32 v[188:189], v[46:47], v[188:189]              // 00000000990C: D3B140BC 1803792E
	v_pk_mul_f32 v[190:191], v[46:47], v[190:191]              // 000000009914: D3B140BE 18037D2E
	s_waitcnt vmcnt(24) lgkmcnt(0)                             // 00000000991C: BF8C4078
	s_barrier                                                  // 000000009920: BF8A0000
	v_mfma_f32_16x16x32_fp8_fp8 v[128:131], a[0:1], v[192:193], v[128:131]// 000000009924: D3F30080 0E038100
	buffer_load_dwordx4 a[128:131], v36, s[92:95], 0 offen     // 00000000992C: E05C1000 80978024
	v_mfma_f32_16x16x32_fp8_fp8 v[128:131], a[2:3], v[194:195], v[128:131]// 000000009934: D3F30080 0E038502
	v_mfma_f32_16x16x32_fp8_fp8 v[128:131], a[4:5], v[196:197], v[128:131]// 00000000993C: D3F30080 0E038904
	buffer_load_dword v28, s[20:23], 0 offen lds               // 000000009944: E0511000 8005001C
	buffer_load_dword v28, s[20:23], 0 offen offset:256 lds    // 00000000994C: E0511100 8005001C
	s_add_u32 m0, 0x820, s51                                   // 000000009954: 807C33FF 00000820
	v_mfma_f32_16x16x32_fp8_fp8 v[128:131], a[6:7], v[198:199], v[128:131]// 00000000995C: D3F30080 0E038D06
	v_mfma_f32_16x16x32_fp8_fp8 v[128:131], a[8:9], v[200:201], v[128:131]// 000000009964: D3F30080 0E039108
	buffer_load_dwordx4 a[132:135], v36, s[92:95], 0 offen offset:1024// 00000000996C: E05C1400 80978424
	v_mfma_f32_16x16x32_fp8_fp8 v[128:131], a[10:11], v[202:203], v[128:131]// 000000009974: D3F30080 0E03950A
	v_mfma_f32_16x16x32_fp8_fp8 v[128:131], a[12:13], v[204:205], v[128:131]// 00000000997C: D3F30080 0E03990C
	buffer_load_dword v29, s[20:23], 0 offen lds               // 000000009984: E0511000 8005001D
	buffer_load_dword v29, s[20:23], 0 offen offset:256 lds    // 00000000998C: E0511100 8005001D
	s_add_u32 m0, 0x1040, s51                                  // 000000009994: 807C33FF 00001040
	v_mfma_f32_16x16x32_fp8_fp8 v[128:131], a[14:15], v[206:207], v[128:131]// 00000000999C: D3F30080 0E039D0E
	v_mfma_f32_16x16x32_fp8_fp8 v[132:135], a[0:1], v[208:209], v[132:135]// 0000000099A4: D3F30084 0E13A100
	buffer_load_dwordx4 a[136:139], v36, s[92:95], 0 offen offset:2048// 0000000099AC: E05C1800 80978824
	v_mfma_f32_16x16x32_fp8_fp8 v[132:135], a[2:3], v[210:211], v[132:135]// 0000000099B4: D3F30084 0E13A502
	v_mfma_f32_16x16x32_fp8_fp8 v[132:135], a[4:5], v[212:213], v[132:135]// 0000000099BC: D3F30084 0E13A904
	buffer_load_dword v30, s[20:23], 0 offen lds               // 0000000099C4: E0511000 8005001E
	buffer_load_dword v30, s[20:23], 0 offen offset:256 lds    // 0000000099CC: E0511100 8005001E
	s_add_u32 m0, 0x1860, s51                                  // 0000000099D4: 807C33FF 00001860
	v_mfma_f32_16x16x32_fp8_fp8 v[132:135], a[6:7], v[214:215], v[132:135]// 0000000099DC: D3F30084 0E13AD06
	v_mfma_f32_16x16x32_fp8_fp8 v[132:135], a[8:9], v[216:217], v[132:135]// 0000000099E4: D3F30084 0E13B108
	buffer_load_dwordx4 a[140:143], v36, s[92:95], 0 offen offset:3072// 0000000099EC: E05C1C00 80978C24
	v_mfma_f32_16x16x32_fp8_fp8 v[132:135], a[10:11], v[218:219], v[132:135]// 0000000099F4: D3F30084 0E13B50A
	v_mfma_f32_16x16x32_fp8_fp8 v[132:135], a[12:13], v[220:221], v[132:135]// 0000000099FC: D3F30084 0E13B90C
	buffer_load_dword v31, s[20:23], 0 offen lds               // 000000009A04: E0511000 8005001F
	buffer_load_dword v31, s[20:23], 0 offen offset:256 lds    // 000000009A0C: E0511100 8005001F
	s_add_u32 m0, 0x2080, s51                                  // 000000009A14: 807C33FF 00002080
	v_mfma_f32_16x16x32_fp8_fp8 v[132:135], a[14:15], v[222:223], v[132:135]// 000000009A1C: D3F30084 0E13BD0E
	v_mfma_f32_16x16x32_fp8_fp8 v[136:139], a[16:17], v[192:193], v[136:139]// 000000009A24: D3F30088 0E238110
	buffer_load_dwordx4 a[144:147], v37, s[92:95], 0 offen     // 000000009A2C: E05C1000 80979025
	v_mfma_f32_16x16x32_fp8_fp8 v[136:139], a[18:19], v[194:195], v[136:139]// 000000009A34: D3F30088 0E238512
	v_mfma_f32_16x16x32_fp8_fp8 v[136:139], a[20:21], v[196:197], v[136:139]// 000000009A3C: D3F30088 0E238914
	buffer_load_dword v32, s[20:23], 0 offen lds               // 000000009A44: E0511000 80050020
	buffer_load_dword v32, s[20:23], 0 offen offset:256 lds    // 000000009A4C: E0511100 80050020
	s_add_u32 m0, 0x28a0, s51                                  // 000000009A54: 807C33FF 000028A0
	v_mfma_f32_16x16x32_fp8_fp8 v[136:139], a[22:23], v[198:199], v[136:139]// 000000009A5C: D3F30088 0E238D16
	v_mfma_f32_16x16x32_fp8_fp8 v[136:139], a[24:25], v[200:201], v[136:139]// 000000009A64: D3F30088 0E239118
	buffer_load_dwordx4 a[148:151], v37, s[92:95], 0 offen offset:1024// 000000009A6C: E05C1400 80979425
	v_mfma_f32_16x16x32_fp8_fp8 v[136:139], a[26:27], v[202:203], v[136:139]// 000000009A74: D3F30088 0E23951A
	v_mfma_f32_16x16x32_fp8_fp8 v[136:139], a[28:29], v[204:205], v[136:139]// 000000009A7C: D3F30088 0E23991C
	buffer_load_dword v33, s[20:23], 0 offen lds               // 000000009A84: E0511000 80050021
	buffer_load_dword v33, s[20:23], 0 offen offset:256 lds    // 000000009A8C: E0511100 80050021
	s_add_u32 m0, 0x30c0, s51                                  // 000000009A94: 807C33FF 000030C0
	v_mfma_f32_16x16x32_fp8_fp8 v[136:139], a[30:31], v[206:207], v[136:139]// 000000009A9C: D3F30088 0E239D1E
	v_mfma_f32_16x16x32_fp8_fp8 v[140:143], a[16:17], v[208:209], v[140:143]// 000000009AA4: D3F3008C 0E33A110
	buffer_load_dwordx4 a[152:155], v37, s[92:95], 0 offen offset:2048// 000000009AAC: E05C1800 80979825
	v_mfma_f32_16x16x32_fp8_fp8 v[140:143], a[18:19], v[210:211], v[140:143]// 000000009AB4: D3F3008C 0E33A512
	v_mfma_f32_16x16x32_fp8_fp8 v[140:143], a[20:21], v[212:213], v[140:143]// 000000009ABC: D3F3008C 0E33A914
	buffer_load_dword v34, s[20:23], 0 offen lds               // 000000009AC4: E0511000 80050022
	buffer_load_dword v34, s[20:23], 0 offen offset:256 lds    // 000000009ACC: E0511100 80050022
	s_add_u32 m0, 0x38e0, s51                                  // 000000009AD4: 807C33FF 000038E0
	v_mfma_f32_16x16x32_fp8_fp8 v[140:143], a[22:23], v[214:215], v[140:143]// 000000009ADC: D3F3008C 0E33AD16
	v_mfma_f32_16x16x32_fp8_fp8 v[140:143], a[24:25], v[216:217], v[140:143]// 000000009AE4: D3F3008C 0E33B118
	buffer_load_dwordx4 a[156:159], v37, s[92:95], 0 offen offset:3072// 000000009AEC: E05C1C00 80979C25
	v_mfma_f32_16x16x32_fp8_fp8 v[140:143], a[26:27], v[218:219], v[140:143]// 000000009AF4: D3F3008C 0E33B51A
	v_mfma_f32_16x16x32_fp8_fp8 v[140:143], a[28:29], v[220:221], v[140:143]// 000000009AFC: D3F3008C 0E33B91C
	buffer_load_dword v35, s[20:23], 0 offen lds               // 000000009B04: E0511000 80050023
	buffer_load_dword v35, s[20:23], 0 offen offset:256 lds    // 000000009B0C: E0511100 80050023
	s_add_u32 m0, 0, s50                                       // 000000009B14: 807C3280
	v_mfma_f32_16x16x32_fp8_fp8 v[140:143], a[30:31], v[222:223], v[140:143]// 000000009B18: D3F3008C 0E33BD1E
	buffer_load_dword v15, v6, s[28:31], 0 offen               // 000000009B20: E0501000 80070F06
	s_waitcnt vmcnt(45)                                        // 000000009B28: BF8C8F7D
	v_mfma_f32_16x16x32_fp8_fp8 v[144:147], a[32:33], v[192:193], v[144:147]// 000000009B2C: D3F30090 0E438120
	buffer_load_dwordx4 a[160:163], v38, s[92:95], 0 offen     // 000000009B34: E05C1000 8097A026
	v_mfma_f32_16x16x32_fp8_fp8 v[144:147], a[34:35], v[194:195], v[144:147]// 000000009B3C: D3F30090 0E438522
	v_mfma_f32_16x16x32_fp8_fp8 v[144:147], a[36:37], v[196:197], v[144:147]// 000000009B44: D3F30090 0E438924
	v_mfma_f32_16x16x32_fp8_fp8 v[144:147], a[38:39], v[198:199], v[144:147]// 000000009B4C: D3F30090 0E438D26
	v_mfma_f32_16x16x32_fp8_fp8 v[144:147], a[40:41], v[200:201], v[144:147]// 000000009B54: D3F30090 0E439128
	buffer_load_dwordx4 a[164:167], v38, s[92:95], 0 offen offset:1024// 000000009B5C: E05C1400 8097A426
	v_mfma_f32_16x16x32_fp8_fp8 v[144:147], a[42:43], v[202:203], v[144:147]// 000000009B64: D3F30090 0E43952A
	v_mfma_f32_16x16x32_fp8_fp8 v[144:147], a[44:45], v[204:205], v[144:147]// 000000009B6C: D3F30090 0E43992C
	v_mfma_f32_16x16x32_fp8_fp8 v[144:147], a[46:47], v[206:207], v[144:147]// 000000009B74: D3F30090 0E439D2E
	v_mfma_f32_16x16x32_fp8_fp8 v[148:151], a[32:33], v[208:209], v[148:151]// 000000009B7C: D3F30094 0E53A120
	buffer_load_dwordx4 a[168:171], v38, s[92:95], 0 offen offset:2048// 000000009B84: E05C1800 8097A826
	v_mfma_f32_16x16x32_fp8_fp8 v[148:151], a[34:35], v[210:211], v[148:151]// 000000009B8C: D3F30094 0E53A522
	v_mfma_f32_16x16x32_fp8_fp8 v[148:151], a[36:37], v[212:213], v[148:151]// 000000009B94: D3F30094 0E53A924
	v_mfma_f32_16x16x32_fp8_fp8 v[148:151], a[38:39], v[214:215], v[148:151]// 000000009B9C: D3F30094 0E53AD26
	v_mfma_f32_16x16x32_fp8_fp8 v[148:151], a[40:41], v[216:217], v[148:151]// 000000009BA4: D3F30094 0E53B128
	buffer_load_dwordx4 a[172:175], v38, s[92:95], 0 offen offset:3072// 000000009BAC: E05C1C00 8097AC26
	v_mfma_f32_16x16x32_fp8_fp8 v[148:151], a[42:43], v[218:219], v[148:151]// 000000009BB4: D3F30094 0E53B52A
	v_mfma_f32_16x16x32_fp8_fp8 v[148:151], a[44:45], v[220:221], v[148:151]// 000000009BBC: D3F30094 0E53B92C
	v_mfma_f32_16x16x32_fp8_fp8 v[148:151], a[46:47], v[222:223], v[148:151]// 000000009BC4: D3F30094 0E53BD2E
	s_waitcnt vmcnt(45)                                        // 000000009BCC: BF8C8F7D
	v_mfma_f32_16x16x32_fp8_fp8 v[152:155], a[48:49], v[192:193], v[152:155]// 000000009BD0: D3F30098 0E638130
	buffer_load_dwordx4 a[176:179], v39, s[92:95], 0 offen     // 000000009BD8: E05C1000 8097B027
	v_mfma_f32_16x16x32_fp8_fp8 v[152:155], a[50:51], v[194:195], v[152:155]// 000000009BE0: D3F30098 0E638532
	v_mfma_f32_16x16x32_fp8_fp8 v[152:155], a[52:53], v[196:197], v[152:155]// 000000009BE8: D3F30098 0E638934
	v_mfma_f32_16x16x32_fp8_fp8 v[152:155], a[54:55], v[198:199], v[152:155]// 000000009BF0: D3F30098 0E638D36
	v_mfma_f32_16x16x32_fp8_fp8 v[152:155], a[56:57], v[200:201], v[152:155]// 000000009BF8: D3F30098 0E639138
	buffer_load_dwordx4 a[180:183], v39, s[92:95], 0 offen offset:1024// 000000009C00: E05C1400 8097B427
	v_mfma_f32_16x16x32_fp8_fp8 v[152:155], a[58:59], v[202:203], v[152:155]// 000000009C08: D3F30098 0E63953A
	v_mfma_f32_16x16x32_fp8_fp8 v[152:155], a[60:61], v[204:205], v[152:155]// 000000009C10: D3F30098 0E63993C
	v_mfma_f32_16x16x32_fp8_fp8 v[152:155], a[62:63], v[206:207], v[152:155]// 000000009C18: D3F30098 0E639D3E
	v_mfma_f32_16x16x32_fp8_fp8 v[156:159], a[48:49], v[208:209], v[156:159]// 000000009C20: D3F3009C 0E73A130
	buffer_load_dwordx4 a[184:187], v39, s[92:95], 0 offen offset:2048// 000000009C28: E05C1800 8097B827
	v_mfma_f32_16x16x32_fp8_fp8 v[156:159], a[50:51], v[210:211], v[156:159]// 000000009C30: D3F3009C 0E73A532
	v_mfma_f32_16x16x32_fp8_fp8 v[156:159], a[52:53], v[212:213], v[156:159]// 000000009C38: D3F3009C 0E73A934
	v_mfma_f32_16x16x32_fp8_fp8 v[156:159], a[54:55], v[214:215], v[156:159]// 000000009C40: D3F3009C 0E73AD36
	v_mfma_f32_16x16x32_fp8_fp8 v[156:159], a[56:57], v[216:217], v[156:159]// 000000009C48: D3F3009C 0E73B138
	buffer_load_dwordx4 a[188:191], v39, s[92:95], 0 offen offset:3072// 000000009C50: E05C1C00 8097BC27
	v_mfma_f32_16x16x32_fp8_fp8 v[156:159], a[58:59], v[218:219], v[156:159]// 000000009C58: D3F3009C 0E73B53A
	v_mfma_f32_16x16x32_fp8_fp8 v[156:159], a[60:61], v[220:221], v[156:159]// 000000009C60: D3F3009C 0E73B93C
	v_mfma_f32_16x16x32_fp8_fp8 v[156:159], a[62:63], v[222:223], v[156:159]// 000000009C68: D3F3009C 0E73BD3E
	s_waitcnt vmcnt(45)                                        // 000000009C70: BF8C8F7D
	v_mfma_f32_16x16x32_fp8_fp8 v[160:163], a[64:65], v[192:193], v[160:163]// 000000009C74: D3F300A0 0E838140
	buffer_load_dwordx4 a[192:195], v40, s[92:95], 0 offen     // 000000009C7C: E05C1000 8097C028
	v_mfma_f32_16x16x32_fp8_fp8 v[160:163], a[66:67], v[194:195], v[160:163]// 000000009C84: D3F300A0 0E838542
	v_mfma_f32_16x16x32_fp8_fp8 v[160:163], a[68:69], v[196:197], v[160:163]// 000000009C8C: D3F300A0 0E838944
	v_mfma_f32_16x16x32_fp8_fp8 v[160:163], a[70:71], v[198:199], v[160:163]// 000000009C94: D3F300A0 0E838D46
	v_mfma_f32_16x16x32_fp8_fp8 v[160:163], a[72:73], v[200:201], v[160:163]// 000000009C9C: D3F300A0 0E839148
	buffer_load_dwordx4 a[196:199], v40, s[92:95], 0 offen offset:1024// 000000009CA4: E05C1400 8097C428
	v_mfma_f32_16x16x32_fp8_fp8 v[160:163], a[74:75], v[202:203], v[160:163]// 000000009CAC: D3F300A0 0E83954A
	v_mfma_f32_16x16x32_fp8_fp8 v[160:163], a[76:77], v[204:205], v[160:163]// 000000009CB4: D3F300A0 0E83994C
	v_mfma_f32_16x16x32_fp8_fp8 v[160:163], a[78:79], v[206:207], v[160:163]// 000000009CBC: D3F300A0 0E839D4E
	v_mfma_f32_16x16x32_fp8_fp8 v[164:167], a[64:65], v[208:209], v[164:167]// 000000009CC4: D3F300A4 0E93A140
	buffer_load_dwordx4 a[200:203], v40, s[92:95], 0 offen offset:2048// 000000009CCC: E05C1800 8097C828
	v_mfma_f32_16x16x32_fp8_fp8 v[164:167], a[66:67], v[210:211], v[164:167]// 000000009CD4: D3F300A4 0E93A542
	v_mfma_f32_16x16x32_fp8_fp8 v[164:167], a[68:69], v[212:213], v[164:167]// 000000009CDC: D3F300A4 0E93A944
	v_mfma_f32_16x16x32_fp8_fp8 v[164:167], a[70:71], v[214:215], v[164:167]// 000000009CE4: D3F300A4 0E93AD46
	v_mfma_f32_16x16x32_fp8_fp8 v[164:167], a[72:73], v[216:217], v[164:167]// 000000009CEC: D3F300A4 0E93B148
	buffer_load_dwordx4 a[204:207], v40, s[92:95], 0 offen offset:3072// 000000009CF4: E05C1C00 8097CC28
	v_mfma_f32_16x16x32_fp8_fp8 v[164:167], a[74:75], v[218:219], v[164:167]// 000000009CFC: D3F300A4 0E93B54A
	v_mfma_f32_16x16x32_fp8_fp8 v[164:167], a[76:77], v[220:221], v[164:167]// 000000009D04: D3F300A4 0E93B94C
	v_mfma_f32_16x16x32_fp8_fp8 v[164:167], a[78:79], v[222:223], v[164:167]// 000000009D0C: D3F300A4 0E93BD4E
	s_waitcnt vmcnt(45)                                        // 000000009D14: BF8C8F7D
	v_mfma_f32_16x16x32_fp8_fp8 v[168:171], a[80:81], v[192:193], v[168:171]// 000000009D18: D3F300A8 0EA38150
	buffer_load_dwordx4 a[208:211], v41, s[92:95], 0 offen     // 000000009D20: E05C1000 8097D029
	v_mfma_f32_16x16x32_fp8_fp8 v[168:171], a[82:83], v[194:195], v[168:171]// 000000009D28: D3F300A8 0EA38552
	v_mfma_f32_16x16x32_fp8_fp8 v[168:171], a[84:85], v[196:197], v[168:171]// 000000009D30: D3F300A8 0EA38954
	v_mfma_f32_16x16x32_fp8_fp8 v[168:171], a[86:87], v[198:199], v[168:171]// 000000009D38: D3F300A8 0EA38D56
	v_mfma_f32_16x16x32_fp8_fp8 v[168:171], a[88:89], v[200:201], v[168:171]// 000000009D40: D3F300A8 0EA39158
	buffer_load_dwordx4 a[212:215], v41, s[92:95], 0 offen offset:1024// 000000009D48: E05C1400 8097D429
	v_mfma_f32_16x16x32_fp8_fp8 v[168:171], a[90:91], v[202:203], v[168:171]// 000000009D50: D3F300A8 0EA3955A
	v_mfma_f32_16x16x32_fp8_fp8 v[168:171], a[92:93], v[204:205], v[168:171]// 000000009D58: D3F300A8 0EA3995C
	v_mfma_f32_16x16x32_fp8_fp8 v[168:171], a[94:95], v[206:207], v[168:171]// 000000009D60: D3F300A8 0EA39D5E
	v_mfma_f32_16x16x32_fp8_fp8 v[172:175], a[80:81], v[208:209], v[172:175]// 000000009D68: D3F300AC 0EB3A150
	buffer_load_dwordx4 a[216:219], v41, s[92:95], 0 offen offset:2048// 000000009D70: E05C1800 8097D829
	v_mfma_f32_16x16x32_fp8_fp8 v[172:175], a[82:83], v[210:211], v[172:175]// 000000009D78: D3F300AC 0EB3A552
	v_mfma_f32_16x16x32_fp8_fp8 v[172:175], a[84:85], v[212:213], v[172:175]// 000000009D80: D3F300AC 0EB3A954
	v_mfma_f32_16x16x32_fp8_fp8 v[172:175], a[86:87], v[214:215], v[172:175]// 000000009D88: D3F300AC 0EB3AD56
	v_mfma_f32_16x16x32_fp8_fp8 v[172:175], a[88:89], v[216:217], v[172:175]// 000000009D90: D3F300AC 0EB3B158
	buffer_load_dwordx4 a[220:223], v41, s[92:95], 0 offen offset:3072// 000000009D98: E05C1C00 8097DC29
	v_mfma_f32_16x16x32_fp8_fp8 v[172:175], a[90:91], v[218:219], v[172:175]// 000000009DA0: D3F300AC 0EB3B55A
	v_mfma_f32_16x16x32_fp8_fp8 v[172:175], a[92:93], v[220:221], v[172:175]// 000000009DA8: D3F300AC 0EB3B95C
	v_mfma_f32_16x16x32_fp8_fp8 v[172:175], a[94:95], v[222:223], v[172:175]// 000000009DB0: D3F300AC 0EB3BD5E
	s_waitcnt vmcnt(45)                                        // 000000009DB8: BF8C8F7D
	v_mfma_f32_16x16x32_fp8_fp8 v[176:179], a[96:97], v[192:193], v[176:179]// 000000009DBC: D3F300B0 0EC38160
	buffer_load_dwordx4 a[224:227], v42, s[92:95], 0 offen     // 000000009DC4: E05C1000 8097E02A
	v_mfma_f32_16x16x32_fp8_fp8 v[176:179], a[98:99], v[194:195], v[176:179]// 000000009DCC: D3F300B0 0EC38562
	v_mfma_f32_16x16x32_fp8_fp8 v[176:179], a[100:101], v[196:197], v[176:179]// 000000009DD4: D3F300B0 0EC38964
	v_mfma_f32_16x16x32_fp8_fp8 v[176:179], a[102:103], v[198:199], v[176:179]// 000000009DDC: D3F300B0 0EC38D66
	v_mfma_f32_16x16x32_fp8_fp8 v[176:179], a[104:105], v[200:201], v[176:179]// 000000009DE4: D3F300B0 0EC39168
	buffer_load_dwordx4 a[228:231], v42, s[92:95], 0 offen offset:1024// 000000009DEC: E05C1400 8097E42A
	v_mfma_f32_16x16x32_fp8_fp8 v[176:179], a[106:107], v[202:203], v[176:179]// 000000009DF4: D3F300B0 0EC3956A
	v_mfma_f32_16x16x32_fp8_fp8 v[176:179], a[108:109], v[204:205], v[176:179]// 000000009DFC: D3F300B0 0EC3996C
	v_mfma_f32_16x16x32_fp8_fp8 v[176:179], a[110:111], v[206:207], v[176:179]// 000000009E04: D3F300B0 0EC39D6E
	v_mfma_f32_16x16x32_fp8_fp8 v[180:183], a[96:97], v[208:209], v[180:183]// 000000009E0C: D3F300B4 0ED3A160
	buffer_load_dwordx4 a[232:235], v42, s[92:95], 0 offen offset:2048// 000000009E14: E05C1800 8097E82A
	v_mfma_f32_16x16x32_fp8_fp8 v[180:183], a[98:99], v[210:211], v[180:183]// 000000009E1C: D3F300B4 0ED3A562
	v_mfma_f32_16x16x32_fp8_fp8 v[180:183], a[100:101], v[212:213], v[180:183]// 000000009E24: D3F300B4 0ED3A964
	v_mfma_f32_16x16x32_fp8_fp8 v[180:183], a[102:103], v[214:215], v[180:183]// 000000009E2C: D3F300B4 0ED3AD66
	v_mfma_f32_16x16x32_fp8_fp8 v[180:183], a[104:105], v[216:217], v[180:183]// 000000009E34: D3F300B4 0ED3B168
	buffer_load_dwordx4 a[236:239], v42, s[92:95], 0 offen offset:3072// 000000009E3C: E05C1C00 8097EC2A
	v_mfma_f32_16x16x32_fp8_fp8 v[180:183], a[106:107], v[218:219], v[180:183]// 000000009E44: D3F300B4 0ED3B56A
	v_mfma_f32_16x16x32_fp8_fp8 v[180:183], a[108:109], v[220:221], v[180:183]// 000000009E4C: D3F300B4 0ED3B96C
	v_mfma_f32_16x16x32_fp8_fp8 v[180:183], a[110:111], v[222:223], v[180:183]// 000000009E54: D3F300B4 0ED3BD6E
	s_waitcnt vmcnt(45)                                        // 000000009E5C: BF8C8F7D
	v_mfma_f32_16x16x32_fp8_fp8 v[184:187], a[112:113], v[192:193], v[184:187]// 000000009E60: D3F300B8 0EE38170
	buffer_load_dwordx4 a[240:243], v43, s[92:95], 0 offen     // 000000009E68: E05C1000 8097F02B
	v_mfma_f32_16x16x32_fp8_fp8 v[184:187], a[114:115], v[194:195], v[184:187]// 000000009E70: D3F300B8 0EE38572
	v_mfma_f32_16x16x32_fp8_fp8 v[184:187], a[116:117], v[196:197], v[184:187]// 000000009E78: D3F300B8 0EE38974
	v_mfma_f32_16x16x32_fp8_fp8 v[184:187], a[118:119], v[198:199], v[184:187]// 000000009E80: D3F300B8 0EE38D76
	v_mfma_f32_16x16x32_fp8_fp8 v[184:187], a[120:121], v[200:201], v[184:187]// 000000009E88: D3F300B8 0EE39178
	buffer_load_dwordx4 a[244:247], v43, s[92:95], 0 offen offset:1024// 000000009E90: E05C1400 8097F42B
	v_mfma_f32_16x16x32_fp8_fp8 v[184:187], a[122:123], v[202:203], v[184:187]// 000000009E98: D3F300B8 0EE3957A
	v_mfma_f32_16x16x32_fp8_fp8 v[184:187], a[124:125], v[204:205], v[184:187]// 000000009EA0: D3F300B8 0EE3997C
	v_mfma_f32_16x16x32_fp8_fp8 v[184:187], a[126:127], v[206:207], v[184:187]// 000000009EA8: D3F300B8 0EE39D7E
	v_mfma_f32_16x16x32_fp8_fp8 v[188:191], a[112:113], v[208:209], v[188:191]// 000000009EB0: D3F300BC 0EF3A170
	buffer_load_dwordx4 a[248:251], v43, s[92:95], 0 offen offset:2048// 000000009EB8: E05C1800 8097F82B
	v_mfma_f32_16x16x32_fp8_fp8 v[188:191], a[114:115], v[210:211], v[188:191]// 000000009EC0: D3F300BC 0EF3A572
	v_mfma_f32_16x16x32_fp8_fp8 v[188:191], a[116:117], v[212:213], v[188:191]// 000000009EC8: D3F300BC 0EF3A974
	v_mfma_f32_16x16x32_fp8_fp8 v[188:191], a[118:119], v[214:215], v[188:191]// 000000009ED0: D3F300BC 0EF3AD76
	v_mfma_f32_16x16x32_fp8_fp8 v[188:191], a[120:121], v[216:217], v[188:191]// 000000009ED8: D3F300BC 0EF3B178
	buffer_load_dwordx4 a[252:255], v43, s[92:95], 0 offen offset:3072// 000000009EE0: E05C1C00 8097FC2B
	v_mfma_f32_16x16x32_fp8_fp8 v[188:191], a[122:123], v[218:219], v[188:191]// 000000009EE8: D3F300BC 0EF3B57A
	v_mfma_f32_16x16x32_fp8_fp8 v[188:191], a[124:125], v[220:221], v[188:191]// 000000009EF0: D3F300BC 0EF3B97C
	v_mfma_f32_16x16x32_fp8_fp8 v[188:191], a[126:127], v[222:223], v[188:191]// 000000009EF8: D3F300BC 0EF3BD7E
	v_mov_b32_e32 v44, v24                                     // 000000009F00: 7E580318
	v_mov_b32_e32 v46, v25                                     // 000000009F04: 7E5C0319
	v_mov_b32_e32 v45, v44                                     // 000000009F08: 7E5A032C
	v_mov_b32_e32 v47, v46                                     // 000000009F0C: 7E5E032E
	v_pk_mul_f32 v[128:129], v[44:45], v[128:129]              // 000000009F10: D3B14080 1803012C
	v_pk_mul_f32 v[130:131], v[44:45], v[130:131]              // 000000009F18: D3B14082 1803052C
	v_pk_mul_f32 v[132:133], v[46:47], v[132:133]              // 000000009F20: D3B14084 1803092E
	v_pk_mul_f32 v[134:135], v[46:47], v[134:135]              // 000000009F28: D3B14086 18030D2E
	v_pk_mul_f32 v[136:137], v[44:45], v[136:137]              // 000000009F30: D3B14088 1803112C
	v_pk_mul_f32 v[138:139], v[44:45], v[138:139]              // 000000009F38: D3B1408A 1803152C
	v_pk_mul_f32 v[140:141], v[46:47], v[140:141]              // 000000009F40: D3B1408C 1803192E
	v_pk_mul_f32 v[142:143], v[46:47], v[142:143]              // 000000009F48: D3B1408E 18031D2E
	v_pk_mul_f32 v[144:145], v[44:45], v[144:145]              // 000000009F50: D3B14090 1803212C
	v_pk_mul_f32 v[146:147], v[44:45], v[146:147]              // 000000009F58: D3B14092 1803252C
	v_pk_mul_f32 v[148:149], v[46:47], v[148:149]              // 000000009F60: D3B14094 1803292E
	v_pk_mul_f32 v[150:151], v[46:47], v[150:151]              // 000000009F68: D3B14096 18032D2E
	v_pk_mul_f32 v[152:153], v[44:45], v[152:153]              // 000000009F70: D3B14098 1803312C
	v_pk_mul_f32 v[154:155], v[44:45], v[154:155]              // 000000009F78: D3B1409A 1803352C
	v_pk_mul_f32 v[156:157], v[46:47], v[156:157]              // 000000009F80: D3B1409C 1803392E
	v_pk_mul_f32 v[158:159], v[46:47], v[158:159]              // 000000009F88: D3B1409E 18033D2E
	v_pk_mul_f32 v[160:161], v[44:45], v[160:161]              // 000000009F90: D3B140A0 1803412C
	v_pk_mul_f32 v[162:163], v[44:45], v[162:163]              // 000000009F98: D3B140A2 1803452C
	v_pk_mul_f32 v[164:165], v[46:47], v[164:165]              // 000000009FA0: D3B140A4 1803492E
	v_pk_mul_f32 v[166:167], v[46:47], v[166:167]              // 000000009FA8: D3B140A6 18034D2E
	v_pk_mul_f32 v[168:169], v[44:45], v[168:169]              // 000000009FB0: D3B140A8 1803512C
	v_pk_mul_f32 v[170:171], v[44:45], v[170:171]              // 000000009FB8: D3B140AA 1803552C
	v_pk_mul_f32 v[172:173], v[46:47], v[172:173]              // 000000009FC0: D3B140AC 1803592E
	v_pk_mul_f32 v[174:175], v[46:47], v[174:175]              // 000000009FC8: D3B140AE 18035D2E
	v_pk_mul_f32 v[176:177], v[44:45], v[176:177]              // 000000009FD0: D3B140B0 1803612C
	v_pk_mul_f32 v[178:179], v[44:45], v[178:179]              // 000000009FD8: D3B140B2 1803652C
	v_pk_mul_f32 v[180:181], v[46:47], v[180:181]              // 000000009FE0: D3B140B4 1803692E
	v_pk_mul_f32 v[182:183], v[46:47], v[182:183]              // 000000009FE8: D3B140B6 18036D2E
	v_pk_mul_f32 v[184:185], v[44:45], v[184:185]              // 000000009FF0: D3B140B8 1803712C
	v_pk_mul_f32 v[186:187], v[44:45], v[186:187]              // 000000009FF8: D3B140BA 1803752C
	v_pk_mul_f32 v[188:189], v[46:47], v[188:189]              // 00000000A000: D3B140BC 1803792E
	v_pk_mul_f32 v[190:191], v[46:47], v[190:191]              // 00000000A008: D3B140BE 18037D2E
	v_rcp_f32_e32 v44, v24                                     // 00000000A010: 7E584518
	v_rcp_f32_e32 v46, v25                                     // 00000000A014: 7E5C4519
	v_mov_b32_e32 v45, v44                                     // 00000000A018: 7E5A032C
	v_mov_b32_e32 v47, v46                                     // 00000000A01C: 7E5E032E
	v_pk_mul_f32 v[64:65], v[44:45], v[64:65]                  // 00000000A020: D3B14040 1802812C
	v_pk_mul_f32 v[66:67], v[44:45], v[66:67]                  // 00000000A028: D3B14042 1802852C
	v_pk_mul_f32 v[68:69], v[46:47], v[68:69]                  // 00000000A030: D3B14044 1802892E
	v_pk_mul_f32 v[70:71], v[46:47], v[70:71]                  // 00000000A038: D3B14046 18028D2E
	v_pk_mul_f32 v[72:73], v[44:45], v[72:73]                  // 00000000A040: D3B14048 1802912C
	v_pk_mul_f32 v[74:75], v[44:45], v[74:75]                  // 00000000A048: D3B1404A 1802952C
	v_pk_mul_f32 v[76:77], v[46:47], v[76:77]                  // 00000000A050: D3B1404C 1802992E
	v_pk_mul_f32 v[78:79], v[46:47], v[78:79]                  // 00000000A058: D3B1404E 18029D2E
	v_pk_mul_f32 v[80:81], v[44:45], v[80:81]                  // 00000000A060: D3B14050 1802A12C
	v_pk_mul_f32 v[82:83], v[44:45], v[82:83]                  // 00000000A068: D3B14052 1802A52C
	v_pk_mul_f32 v[84:85], v[46:47], v[84:85]                  // 00000000A070: D3B14054 1802A92E
	v_pk_mul_f32 v[86:87], v[46:47], v[86:87]                  // 00000000A078: D3B14056 1802AD2E
	v_pk_mul_f32 v[88:89], v[44:45], v[88:89]                  // 00000000A080: D3B14058 1802B12C
	v_pk_mul_f32 v[90:91], v[44:45], v[90:91]                  // 00000000A088: D3B1405A 1802B52C
	v_pk_mul_f32 v[92:93], v[46:47], v[92:93]                  // 00000000A090: D3B1405C 1802B92E
	v_pk_mul_f32 v[94:95], v[46:47], v[94:95]                  // 00000000A098: D3B1405E 1802BD2E
	v_pk_mul_f32 v[96:97], v[44:45], v[96:97]                  // 00000000A0A0: D3B14060 1802C12C
	v_pk_mul_f32 v[98:99], v[44:45], v[98:99]                  // 00000000A0A8: D3B14062 1802C52C
	v_pk_mul_f32 v[100:101], v[46:47], v[100:101]              // 00000000A0B0: D3B14064 1802C92E
	v_pk_mul_f32 v[102:103], v[46:47], v[102:103]              // 00000000A0B8: D3B14066 1802CD2E
	v_pk_mul_f32 v[104:105], v[44:45], v[104:105]              // 00000000A0C0: D3B14068 1802D12C
	v_pk_mul_f32 v[106:107], v[44:45], v[106:107]              // 00000000A0C8: D3B1406A 1802D52C
	v_pk_mul_f32 v[108:109], v[46:47], v[108:109]              // 00000000A0D0: D3B1406C 1802D92E
	v_pk_mul_f32 v[110:111], v[46:47], v[110:111]              // 00000000A0D8: D3B1406E 1802DD2E
	v_pk_mul_f32 v[112:113], v[44:45], v[112:113]              // 00000000A0E0: D3B14070 1802E12C
	v_pk_mul_f32 v[114:115], v[44:45], v[114:115]              // 00000000A0E8: D3B14072 1802E52C
	v_pk_mul_f32 v[116:117], v[46:47], v[116:117]              // 00000000A0F0: D3B14074 1802E92E
	v_pk_mul_f32 v[118:119], v[46:47], v[118:119]              // 00000000A0F8: D3B14076 1802ED2E
	v_pk_mul_f32 v[120:121], v[44:45], v[120:121]              // 00000000A100: D3B14078 1802F12C
	v_pk_mul_f32 v[122:123], v[44:45], v[122:123]              // 00000000A108: D3B1407A 1802F52C
	v_pk_mul_f32 v[124:125], v[46:47], v[124:125]              // 00000000A110: D3B1407C 1802F92E
	v_pk_mul_f32 v[126:127], v[46:47], v[126:127]              // 00000000A118: D3B1407E 1802FD2E
	s_waitcnt vmcnt(24)                                        // 00000000A120: BF8C4F78
	s_barrier                                                  // 00000000A124: BF8A0000
	v_mfma_f32_16x16x32_fp8_fp8 v[64:67], a[128:129], v[192:193], v[64:67]// 00000000A128: D3F30040 0D038180
	buffer_load_dwordx4 a[0:3], v36, s[24:27], 0 offen         // 00000000A130: E05C1000 80860024
	v_mfma_f32_16x16x32_fp8_fp8 v[64:67], a[130:131], v[194:195], v[64:67]// 00000000A138: D3F30040 0D038582
	ds_read_b64 v[224:225], v2 offset:18688                    // 00000000A140: D8EC4900 E0000002
	ds_read_b64 v[228:229], v2 offset:27008                    // 00000000A148: D8EC6980 E4000002
	v_mfma_f32_16x16x32_fp8_fp8 v[64:67], a[132:133], v[196:197], v[64:67]// 00000000A150: D3F30040 0D038984
	v_mfma_f32_16x16x32_fp8_fp8 v[64:67], a[134:135], v[198:199], v[64:67]// 00000000A158: D3F30040 0D038D86
	ds_read_b64 v[232:233], v2 offset:18816                    // 00000000A160: D8EC4980 E8000002
	ds_read_b64 v[236:237], v2 offset:27136                    // 00000000A168: D8EC6A00 EC000002
	v_mfma_f32_16x16x32_fp8_fp8 v[64:67], a[136:137], v[200:201], v[64:67]// 00000000A170: D3F30040 0D039188
	buffer_load_dwordx4 a[4:7], v36, s[24:27], 0 offen offset:1024// 00000000A178: E05C1400 80860424
	v_mfma_f32_16x16x32_fp8_fp8 v[64:67], a[138:139], v[202:203], v[64:67]// 00000000A180: D3F30040 0D03958A
	ds_read_b64 v[240:241], v2 offset:18944                    // 00000000A188: D8EC4A00 F0000002
	ds_read_b64 v[244:245], v2 offset:27264                    // 00000000A190: D8EC6A80 F4000002
	v_mfma_f32_16x16x32_fp8_fp8 v[64:67], a[140:141], v[204:205], v[64:67]// 00000000A198: D3F30040 0D03998C
	v_mfma_f32_16x16x32_fp8_fp8 v[64:67], a[142:143], v[206:207], v[64:67]// 00000000A1A0: D3F30040 0D039D8E
	ds_read_b64 v[248:249], v2 offset:19072                    // 00000000A1A8: D8EC4A80 F8000002
	ds_read_b64 v[252:253], v2 offset:27392                    // 00000000A1B0: D8EC6B00 FC000002
	s_waitcnt lgkmcnt(4)                                       // 00000000A1B8: BF8CC47F
	v_and_b32_e32 v227, 0xffff0000, v225                       // 00000000A1BC: 27C7C2FF FFFF0000
	v_lshlrev_b32_e32 v226, 16, v225                           // 00000000A1C4: 25C5C290
	v_and_b32_e32 v225, 0xffff0000, v224                       // 00000000A1C8: 27C3C0FF FFFF0000
	v_lshlrev_b32_e32 v224, 16, v224                           // 00000000A1D0: 25C1C090
	v_and_b32_e32 v231, 0xffff0000, v229                       // 00000000A1D4: 27CFCAFF FFFF0000
	v_lshlrev_b32_e32 v230, 16, v229                           // 00000000A1DC: 25CDCA90
	v_and_b32_e32 v229, 0xffff0000, v228                       // 00000000A1E0: 27CBC8FF FFFF0000
	v_lshlrev_b32_e32 v228, 16, v228                           // 00000000A1E8: 25C9C890
	v_and_b32_e32 v235, 0xffff0000, v233                       // 00000000A1EC: 27D7D2FF FFFF0000
	v_lshlrev_b32_e32 v234, 16, v233                           // 00000000A1F4: 25D5D290
	v_and_b32_e32 v233, 0xffff0000, v232                       // 00000000A1F8: 27D3D0FF FFFF0000
	v_lshlrev_b32_e32 v232, 16, v232                           // 00000000A200: 25D1D090
	v_and_b32_e32 v239, 0xffff0000, v237                       // 00000000A204: 27DFDAFF FFFF0000
	v_lshlrev_b32_e32 v238, 16, v237                           // 00000000A20C: 25DDDA90
	v_and_b32_e32 v237, 0xffff0000, v236                       // 00000000A210: 27DBD8FF FFFF0000
	v_lshlrev_b32_e32 v236, 16, v236                           // 00000000A218: 25D9D890
	v_mul_f32_dpp v224, v15, v224 row_newbcast:0 row_mask:0xf bank_mask:0xf// 00000000A21C: 0BC1C0FA FF01500F
	v_mul_f32_dpp v225, v15, v225 row_newbcast:1 row_mask:0xf bank_mask:0xf// 00000000A224: 0BC3C2FA FF01510F
	v_mul_f32_dpp v226, v15, v226 row_newbcast:2 row_mask:0xf bank_mask:0xf// 00000000A22C: 0BC5C4FA FF01520F
	v_mul_f32_dpp v227, v15, v227 row_newbcast:3 row_mask:0xf bank_mask:0xf// 00000000A234: 0BC7C6FA FF01530F
	v_mul_f32_dpp v228, v15, v228 row_newbcast:0 row_mask:0xf bank_mask:0xf// 00000000A23C: 0BC9C8FA FF01500F
	v_mul_f32_dpp v229, v15, v229 row_newbcast:1 row_mask:0xf bank_mask:0xf// 00000000A244: 0BCBCAFA FF01510F
	v_mul_f32_dpp v230, v15, v230 row_newbcast:2 row_mask:0xf bank_mask:0xf// 00000000A24C: 0BCDCCFA FF01520F
	v_mul_f32_dpp v231, v15, v231 row_newbcast:3 row_mask:0xf bank_mask:0xf// 00000000A254: 0BCFCEFA FF01530F
	v_mul_f32_dpp v232, v15, v232 row_newbcast:4 row_mask:0xf bank_mask:0xf// 00000000A25C: 0BD1D0FA FF01540F
	v_mul_f32_dpp v233, v15, v233 row_newbcast:5 row_mask:0xf bank_mask:0xf// 00000000A264: 0BD3D2FA FF01550F
	v_mul_f32_dpp v234, v15, v234 row_newbcast:6 row_mask:0xf bank_mask:0xf// 00000000A26C: 0BD5D4FA FF01560F
	v_mul_f32_dpp v235, v15, v235 row_newbcast:7 row_mask:0xf bank_mask:0xf// 00000000A274: 0BD7D6FA FF01570F
	v_mul_f32_dpp v236, v15, v236 row_newbcast:4 row_mask:0xf bank_mask:0xf// 00000000A27C: 0BD9D8FA FF01540F
	v_mul_f32_dpp v237, v15, v237 row_newbcast:5 row_mask:0xf bank_mask:0xf// 00000000A284: 0BDBDAFA FF01550F
	v_mul_f32_dpp v238, v15, v238 row_newbcast:6 row_mask:0xf bank_mask:0xf// 00000000A28C: 0BDDDCFA FF01560F
	v_mul_f32_dpp v239, v15, v239 row_newbcast:7 row_mask:0xf bank_mask:0xf// 00000000A294: 0BDFDEFA FF01570F
	v_mfma_f32_16x16x32_fp8_fp8 v[68:71], a[128:129], v[208:209], v[68:71]// 00000000A29C: D3F30044 0D13A180
	buffer_load_dwordx4 a[8:11], v36, s[24:27], 0 offen offset:2048// 00000000A2A4: E05C1800 80860824
	v_mfma_f32_16x16x32_fp8_fp8 v[68:71], a[130:131], v[210:211], v[68:71]// 00000000A2AC: D3F30044 0D13A582
	v_mfma_f32_16x16x32_fp8_fp8 v[68:71], a[132:133], v[212:213], v[68:71]// 00000000A2B4: D3F30044 0D13A984
	v_mfma_f32_16x16x32_fp8_fp8 v[68:71], a[134:135], v[214:215], v[68:71]// 00000000A2BC: D3F30044 0D13AD86
	v_mfma_f32_16x16x32_fp8_fp8 v[68:71], a[136:137], v[216:217], v[68:71]// 00000000A2C4: D3F30044 0D13B188
	buffer_load_dwordx4 a[12:15], v36, s[24:27], 0 offen offset:3072// 00000000A2CC: E05C1C00 80860C24
	v_mfma_f32_16x16x32_fp8_fp8 v[68:71], a[138:139], v[218:219], v[68:71]// 00000000A2D4: D3F30044 0D13B58A
	v_mfma_f32_16x16x32_fp8_fp8 v[68:71], a[140:141], v[220:221], v[68:71]// 00000000A2DC: D3F30044 0D13B98C
	v_mfma_f32_16x16x32_fp8_fp8 v[68:71], a[142:143], v[222:223], v[68:71]// 00000000A2E4: D3F30044 0D13BD8E
	s_waitcnt lgkmcnt(0)                                       // 00000000A2EC: BF8CC07F
	v_and_b32_e32 v243, 0xffff0000, v241                       // 00000000A2F0: 27E7E2FF FFFF0000
	v_lshlrev_b32_e32 v242, 16, v241                           // 00000000A2F8: 25E5E290
	v_and_b32_e32 v241, 0xffff0000, v240                       // 00000000A2FC: 27E3E0FF FFFF0000
	v_lshlrev_b32_e32 v240, 16, v240                           // 00000000A304: 25E1E090
	v_and_b32_e32 v247, 0xffff0000, v245                       // 00000000A308: 27EFEAFF FFFF0000
	v_lshlrev_b32_e32 v246, 16, v245                           // 00000000A310: 25EDEA90
	v_and_b32_e32 v245, 0xffff0000, v244                       // 00000000A314: 27EBE8FF FFFF0000
	v_lshlrev_b32_e32 v244, 16, v244                           // 00000000A31C: 25E9E890
	v_and_b32_e32 v251, 0xffff0000, v249                       // 00000000A320: 27F7F2FF FFFF0000
	v_lshlrev_b32_e32 v250, 16, v249                           // 00000000A328: 25F5F290
	v_and_b32_e32 v249, 0xffff0000, v248                       // 00000000A32C: 27F3F0FF FFFF0000
	v_lshlrev_b32_e32 v248, 16, v248                           // 00000000A334: 25F1F090
	v_and_b32_e32 v255, 0xffff0000, v253                       // 00000000A338: 27FFFAFF FFFF0000
	v_lshlrev_b32_e32 v254, 16, v253                           // 00000000A340: 25FDFA90
	v_and_b32_e32 v253, 0xffff0000, v252                       // 00000000A344: 27FBF8FF FFFF0000
	v_lshlrev_b32_e32 v252, 16, v252                           // 00000000A34C: 25F9F890
	v_mul_f32_dpp v240, v15, v240 row_newbcast:8 row_mask:0xf bank_mask:0xf// 00000000A350: 0BE1E0FA FF01580F
	v_mul_f32_dpp v241, v15, v241 row_newbcast:9 row_mask:0xf bank_mask:0xf// 00000000A358: 0BE3E2FA FF01590F
	v_mul_f32_dpp v242, v15, v242 row_newbcast:10 row_mask:0xf bank_mask:0xf// 00000000A360: 0BE5E4FA FF015A0F
	v_mul_f32_dpp v243, v15, v243 row_newbcast:11 row_mask:0xf bank_mask:0xf// 00000000A368: 0BE7E6FA FF015B0F
	v_mul_f32_dpp v244, v15, v244 row_newbcast:8 row_mask:0xf bank_mask:0xf// 00000000A370: 0BE9E8FA FF01580F
	v_mul_f32_dpp v245, v15, v245 row_newbcast:9 row_mask:0xf bank_mask:0xf// 00000000A378: 0BEBEAFA FF01590F
	v_mul_f32_dpp v246, v15, v246 row_newbcast:10 row_mask:0xf bank_mask:0xf// 00000000A380: 0BEDECFA FF015A0F
	v_mul_f32_dpp v247, v15, v247 row_newbcast:11 row_mask:0xf bank_mask:0xf// 00000000A388: 0BEFEEFA FF015B0F
	v_mul_f32_dpp v248, v15, v248 row_newbcast:12 row_mask:0xf bank_mask:0xf// 00000000A390: 0BF1F0FA FF015C0F
	v_mul_f32_dpp v249, v15, v249 row_newbcast:13 row_mask:0xf bank_mask:0xf// 00000000A398: 0BF3F2FA FF015D0F
	v_mul_f32_dpp v250, v15, v250 row_newbcast:14 row_mask:0xf bank_mask:0xf// 00000000A3A0: 0BF5F4FA FF015E0F
	v_mul_f32_dpp v251, v15, v251 row_newbcast:15 row_mask:0xf bank_mask:0xf// 00000000A3A8: 0BF7F6FA FF015F0F
	v_mul_f32_dpp v252, v15, v252 row_newbcast:12 row_mask:0xf bank_mask:0xf// 00000000A3B0: 0BF9F8FA FF015C0F
	v_mul_f32_dpp v253, v15, v253 row_newbcast:13 row_mask:0xf bank_mask:0xf// 00000000A3B8: 0BFBFAFA FF015D0F
	v_mul_f32_dpp v254, v15, v254 row_newbcast:14 row_mask:0xf bank_mask:0xf// 00000000A3C0: 0BFDFCFA FF015E0F
	v_mul_f32_dpp v255, v15, v255 row_newbcast:15 row_mask:0xf bank_mask:0xf// 00000000A3C8: 0BFFFEFA FF015F0F
	v_mfma_f32_16x16x32_fp8_fp8 v[72:75], a[144:145], v[192:193], v[72:75]// 00000000A3D0: D3F30048 0D238190
	buffer_load_dwordx4 a[16:19], v37, s[24:27], 0 offen       // 00000000A3D8: E05C1000 80861025
	v_mfma_f32_16x16x32_fp8_fp8 v[72:75], a[146:147], v[194:195], v[72:75]// 00000000A3E0: D3F30048 0D238592
	v_mfma_f32_16x16x32_fp8_fp8 v[72:75], a[148:149], v[196:197], v[72:75]// 00000000A3E8: D3F30048 0D238994
	v_mfma_f32_16x16x32_fp8_fp8 v[72:75], a[150:151], v[198:199], v[72:75]// 00000000A3F0: D3F30048 0D238D96
	v_mfma_f32_16x16x32_fp8_fp8 v[72:75], a[152:153], v[200:201], v[72:75]// 00000000A3F8: D3F30048 0D239198
	buffer_load_dwordx4 a[20:23], v37, s[24:27], 0 offen offset:1024// 00000000A400: E05C1400 80861425
	v_mfma_f32_16x16x32_fp8_fp8 v[72:75], a[154:155], v[202:203], v[72:75]// 00000000A408: D3F30048 0D23959A
	v_mfma_f32_16x16x32_fp8_fp8 v[72:75], a[156:157], v[204:205], v[72:75]// 00000000A410: D3F30048 0D23999C
	v_mfma_f32_16x16x32_fp8_fp8 v[72:75], a[158:159], v[206:207], v[72:75]// 00000000A418: D3F30048 0D239D9E
	v_mov_b32_e32 v48, 0x358637bd                              // 00000000A420: 7E6002FF 358637BD
	v_mov_b32_e32 v49, 0x358637bd                              // 00000000A428: 7E6202FF 358637BD
	v_max3_f32 v48, |v224|, |v225|, v48                        // 00000000A430: D1D30330 04C3C3E0
	v_max3_f32 v48, |v226|, |v227|, v48                        // 00000000A438: D1D30330 04C3C7E2
	v_max3_f32 v49, |v228|, |v229|, v49                        // 00000000A440: D1D30331 04C7CBE4
	v_max3_f32 v49, |v230|, |v231|, v49                        // 00000000A448: D1D30331 04C7CFE6
	v_max3_f32 v48, |v232|, |v233|, v48                        // 00000000A450: D1D30330 04C3D3E8
	v_max3_f32 v48, |v234|, |v235|, v48                        // 00000000A458: D1D30330 04C3D7EA
	v_max3_f32 v49, |v236|, |v237|, v49                        // 00000000A460: D1D30331 04C7DBEC
	v_max3_f32 v49, |v238|, |v239|, v49                        // 00000000A468: D1D30331 04C7DFEE
	v_max3_f32 v48, |v240|, |v241|, v48                        // 00000000A470: D1D30330 04C3E3F0
	v_max3_f32 v48, |v242|, |v243|, v48                        // 00000000A478: D1D30330 04C3E7F2
	v_max3_f32 v49, |v244|, |v245|, v49                        // 00000000A480: D1D30331 04C7EBF4
	v_max3_f32 v49, |v246|, |v247|, v49                        // 00000000A488: D1D30331 04C7EFF6
	v_max3_f32 v48, |v248|, |v249|, v48                        // 00000000A490: D1D30330 04C3F3F8
	v_max3_f32 v48, |v250|, |v251|, v48                        // 00000000A498: D1D30330 04C3F7FA
	v_max3_f32 v49, |v252|, |v253|, v49                        // 00000000A4A0: D1D30331 04C7FBFC
	v_max3_f32 v49, |v254|, |v255|, v49                        // 00000000A4A8: D1D30331 04C7FFFE
	v_mfma_f32_16x16x32_fp8_fp8 v[76:79], a[144:145], v[208:209], v[76:79]// 00000000A4B0: D3F3004C 0D33A190
	buffer_load_dwordx4 a[24:27], v37, s[24:27], 0 offen offset:2048// 00000000A4B8: E05C1800 80861825
	v_mfma_f32_16x16x32_fp8_fp8 v[76:79], a[146:147], v[210:211], v[76:79]// 00000000A4C0: D3F3004C 0D33A592
	ds_write_b64 v3, v[48:49]                                  // 00000000A4C8: D89A0000 00003003
	v_mfma_f32_16x16x32_fp8_fp8 v[76:79], a[148:149], v[212:213], v[76:79]// 00000000A4D0: D3F3004C 0D33A994
	v_mfma_f32_16x16x32_fp8_fp8 v[76:79], a[150:151], v[214:215], v[76:79]// 00000000A4D8: D3F3004C 0D33AD96
	v_mfma_f32_16x16x32_fp8_fp8 v[76:79], a[152:153], v[216:217], v[76:79]// 00000000A4E0: D3F3004C 0D33B198
	buffer_load_dwordx4 a[28:31], v37, s[24:27], 0 offen offset:3072// 00000000A4E8: E05C1C00 80861C25
	v_mfma_f32_16x16x32_fp8_fp8 v[76:79], a[154:155], v[218:219], v[76:79]// 00000000A4F0: D3F3004C 0D33B59A
	v_mfma_f32_16x16x32_fp8_fp8 v[76:79], a[156:157], v[220:221], v[76:79]// 00000000A4F8: D3F3004C 0D33B99C
	v_mfma_f32_16x16x32_fp8_fp8 v[76:79], a[158:159], v[222:223], v[76:79]// 00000000A500: D3F3004C 0D33BD9E
	s_waitcnt lgkmcnt(0)                                       // 00000000A508: BF8CC07F
	s_barrier                                                  // 00000000A50C: BF8A0000
	s_waitcnt vmcnt(28)                                        // 00000000A510: BF8C4F7C
	v_mfma_f32_16x16x32_fp8_fp8 v[80:83], a[160:161], v[192:193], v[80:83]// 00000000A514: D3F30050 0D4381A0
	buffer_load_dwordx4 a[32:35], v38, s[24:27], 0 offen       // 00000000A51C: E05C1000 80862026
	v_mfma_f32_16x16x32_fp8_fp8 v[80:83], a[162:163], v[194:195], v[80:83]// 00000000A524: D3F30050 0D4385A2
	ds_read_b64 v[48:49], v4                                   // 00000000A52C: D8EC0000 30000004
	ds_read_b64 v[50:51], v4 offset:128                        // 00000000A534: D8EC0080 32000004
	v_mfma_f32_16x16x32_fp8_fp8 v[80:83], a[164:165], v[196:197], v[80:83]// 00000000A53C: D3F30050 0D4389A4
	v_mfma_f32_16x16x32_fp8_fp8 v[80:83], a[166:167], v[198:199], v[80:83]// 00000000A544: D3F30050 0D438DA6
	ds_read_b64 v[52:53], v4 offset:256                        // 00000000A54C: D8EC0100 34000004
	ds_read_b64 v[54:55], v4 offset:384                        // 00000000A554: D8EC0180 36000004
	v_mfma_f32_16x16x32_fp8_fp8 v[80:83], a[168:169], v[200:201], v[80:83]// 00000000A55C: D3F30050 0D4391A8
	buffer_load_dwordx4 a[36:39], v38, s[24:27], 0 offen offset:1024// 00000000A564: E05C1400 80862426
	v_mfma_f32_16x16x32_fp8_fp8 v[80:83], a[170:171], v[202:203], v[80:83]// 00000000A56C: D3F30050 0D4395AA
	ds_read_b64 v[56:57], v4 offset:512                        // 00000000A574: D8EC0200 38000004
	ds_read_b64 v[58:59], v4 offset:640                        // 00000000A57C: D8EC0280 3A000004
	v_mfma_f32_16x16x32_fp8_fp8 v[80:83], a[172:173], v[204:205], v[80:83]// 00000000A584: D3F30050 0D4399AC
	v_mfma_f32_16x16x32_fp8_fp8 v[80:83], a[174:175], v[206:207], v[80:83]// 00000000A58C: D3F30050 0D439DAE
	ds_read_b64 v[60:61], v4 offset:768                        // 00000000A594: D8EC0300 3C000004
	ds_read_b64 v[62:63], v4 offset:896                        // 00000000A59C: D8EC0380 3E000004
	s_waitcnt lgkmcnt(0)                                       // 00000000A5A4: BF8CC07F
	v_mov_b32_e32 v22, 0x358637bd                              // 00000000A5A8: 7E2C02FF 358637BD
	v_mov_b32_e32 v23, 0x358637bd                              // 00000000A5B0: 7E2E02FF 358637BD
	v_max3_f32 v22, |v48|, |v50|, v22                          // 00000000A5B8: D1D30316 045A6530
	v_max3_f32 v23, |v49|, |v51|, v23                          // 00000000A5C0: D1D30317 045E6731
	v_max3_f32 v22, |v52|, |v54|, v22                          // 00000000A5C8: D1D30316 045A6D34
	v_max3_f32 v23, |v53|, |v55|, v23                          // 00000000A5D0: D1D30317 045E6F35
	v_max3_f32 v22, |v56|, |v58|, v22                          // 00000000A5D8: D1D30316 045A7538
	v_max3_f32 v23, |v57|, |v59|, v23                          // 00000000A5E0: D1D30317 045E7739
	v_max3_f32 v22, |v60|, |v62|, v22                          // 00000000A5E8: D1D30316 045A7D3C
	v_max3_f32 v23, |v61|, |v63|, v23                          // 00000000A5F0: D1D30317 045E7F3D
	v_mfma_f32_16x16x32_fp8_fp8 v[84:87], a[160:161], v[208:209], v[84:87]// 00000000A5F8: D3F30054 0D53A1A0
	buffer_load_dwordx4 a[40:43], v38, s[24:27], 0 offen offset:2048// 00000000A600: E05C1800 80862826
	v_mfma_f32_16x16x32_fp8_fp8 v[84:87], a[162:163], v[210:211], v[84:87]// 00000000A608: D3F30054 0D53A5A2
	ds_read_b64 v[48:49], v4 offset:1024                       // 00000000A610: D8EC0400 30000004
	ds_read_b64 v[50:51], v4 offset:1152                       // 00000000A618: D8EC0480 32000004
	v_mfma_f32_16x16x32_fp8_fp8 v[84:87], a[164:165], v[212:213], v[84:87]// 00000000A620: D3F30054 0D53A9A4
	v_mfma_f32_16x16x32_fp8_fp8 v[84:87], a[166:167], v[214:215], v[84:87]// 00000000A628: D3F30054 0D53ADA6
	ds_read_b64 v[52:53], v4 offset:1280                       // 00000000A630: D8EC0500 34000004
	ds_read_b64 v[54:55], v4 offset:1408                       // 00000000A638: D8EC0580 36000004
	v_mfma_f32_16x16x32_fp8_fp8 v[84:87], a[168:169], v[216:217], v[84:87]// 00000000A640: D3F30054 0D53B1A8
	buffer_load_dwordx4 a[44:47], v38, s[24:27], 0 offen offset:3072// 00000000A648: E05C1C00 80862C26
	v_mfma_f32_16x16x32_fp8_fp8 v[84:87], a[170:171], v[218:219], v[84:87]// 00000000A650: D3F30054 0D53B5AA
	ds_read_b64 v[56:57], v4 offset:1536                       // 00000000A658: D8EC0600 38000004
	ds_read_b64 v[58:59], v4 offset:1664                       // 00000000A660: D8EC0680 3A000004
	v_mfma_f32_16x16x32_fp8_fp8 v[84:87], a[172:173], v[220:221], v[84:87]// 00000000A668: D3F30054 0D53B9AC
	v_mfma_f32_16x16x32_fp8_fp8 v[84:87], a[174:175], v[222:223], v[84:87]// 00000000A670: D3F30054 0D53BDAE
	ds_read_b64 v[60:61], v4 offset:1792                       // 00000000A678: D8EC0700 3C000004
	ds_read_b64 v[62:63], v4 offset:1920                       // 00000000A680: D8EC0780 3E000004
	s_waitcnt vmcnt(28)                                        // 00000000A688: BF8C4F7C
	v_mfma_f32_16x16x32_fp8_fp8 v[88:91], a[176:177], v[192:193], v[88:91]// 00000000A68C: D3F30058 0D6381B0
	buffer_load_dwordx4 a[48:51], v39, s[24:27], 0 offen       // 00000000A694: E05C1000 80863027
	v_mfma_f32_16x16x32_fp8_fp8 v[88:91], a[178:179], v[194:195], v[88:91]// 00000000A69C: D3F30058 0D6385B2
	v_mfma_f32_16x16x32_fp8_fp8 v[88:91], a[180:181], v[196:197], v[88:91]// 00000000A6A4: D3F30058 0D6389B4
	v_mfma_f32_16x16x32_fp8_fp8 v[88:91], a[182:183], v[198:199], v[88:91]// 00000000A6AC: D3F30058 0D638DB6
	v_mfma_f32_16x16x32_fp8_fp8 v[88:91], a[184:185], v[200:201], v[88:91]// 00000000A6B4: D3F30058 0D6391B8
	buffer_load_dwordx4 a[52:55], v39, s[24:27], 0 offen offset:1024// 00000000A6BC: E05C1400 80863427
	v_mfma_f32_16x16x32_fp8_fp8 v[88:91], a[186:187], v[202:203], v[88:91]// 00000000A6C4: D3F30058 0D6395BA
	v_mfma_f32_16x16x32_fp8_fp8 v[88:91], a[188:189], v[204:205], v[88:91]// 00000000A6CC: D3F30058 0D6399BC
	v_mfma_f32_16x16x32_fp8_fp8 v[88:91], a[190:191], v[206:207], v[88:91]// 00000000A6D4: D3F30058 0D639DBE
	s_waitcnt lgkmcnt(0)                                       // 00000000A6DC: BF8CC07F
	v_max3_f32 v22, |v48|, |v50|, v22                          // 00000000A6E0: D1D30316 045A6530
	v_max3_f32 v23, |v49|, |v51|, v23                          // 00000000A6E8: D1D30317 045E6731
	v_max3_f32 v22, |v52|, |v54|, v22                          // 00000000A6F0: D1D30316 045A6D34
	v_max3_f32 v23, |v53|, |v55|, v23                          // 00000000A6F8: D1D30317 045E6F35
	v_max3_f32 v22, |v56|, |v58|, v22                          // 00000000A700: D1D30316 045A7538
	v_max3_f32 v23, |v57|, |v59|, v23                          // 00000000A708: D1D30317 045E7739
	v_max3_f32 v22, |v60|, |v62|, v22                          // 00000000A710: D1D30316 045A7D3C
	v_max3_f32 v23, |v61|, |v63|, v23                          // 00000000A718: D1D30317 045E7F3D
	v_mov_b32_e32 v44, 0x43700000                              // 00000000A720: 7E5802FF 43700000
	v_rcp_f32_e32 v22, v22                                     // 00000000A728: 7E2C4516
	v_rcp_f32_e32 v23, v23                                     // 00000000A72C: 7E2E4517
	s_nop 1                                                    // 00000000A730: BF800001
	v_mul_f32_e32 v22, v44, v22                                // 00000000A734: 0A2C2D2C
	v_mul_f32_e32 v23, v44, v23                                // 00000000A738: 0A2E2F2C
	v_rcp_f32_e32 v26, v22                                     // 00000000A73C: 7E344516
	v_rcp_f32_e32 v27, v23                                     // 00000000A740: 7E364517
	v_mov_b32_e32 v44, v22                                     // 00000000A744: 7E580316
	v_mov_b32_e32 v45, v22                                     // 00000000A748: 7E5A0316
	v_mov_b32_e32 v46, v23                                     // 00000000A74C: 7E5C0317
	v_mov_b32_e32 v47, v23                                     // 00000000A750: 7E5E0317
	v_mfma_f32_16x16x32_fp8_fp8 v[92:95], a[176:177], v[208:209], v[92:95]// 00000000A754: D3F3005C 0D73A1B0
	buffer_load_dwordx4 a[56:59], v39, s[24:27], 0 offen offset:2048// 00000000A75C: E05C1800 80863827
	v_mfma_f32_16x16x32_fp8_fp8 v[92:95], a[178:179], v[210:211], v[92:95]// 00000000A764: D3F3005C 0D73A5B2
	v_mfma_f32_16x16x32_fp8_fp8 v[92:95], a[180:181], v[212:213], v[92:95]// 00000000A76C: D3F3005C 0D73A9B4
	v_mfma_f32_16x16x32_fp8_fp8 v[92:95], a[182:183], v[214:215], v[92:95]// 00000000A774: D3F3005C 0D73ADB6
	v_mfma_f32_16x16x32_fp8_fp8 v[92:95], a[184:185], v[216:217], v[92:95]// 00000000A77C: D3F3005C 0D73B1B8
	buffer_load_dwordx4 a[60:63], v39, s[24:27], 0 offen offset:3072// 00000000A784: E05C1C00 80863C27
	v_mfma_f32_16x16x32_fp8_fp8 v[92:95], a[186:187], v[218:219], v[92:95]// 00000000A78C: D3F3005C 0D73B5BA
	v_mfma_f32_16x16x32_fp8_fp8 v[92:95], a[188:189], v[220:221], v[92:95]// 00000000A794: D3F3005C 0D73B9BC
	v_mfma_f32_16x16x32_fp8_fp8 v[92:95], a[190:191], v[222:223], v[92:95]// 00000000A79C: D3F3005C 0D73BDBE
	v_pk_mul_f32 v[224:225], v[44:45], v[224:225]              // 00000000A7A4: D3B140E0 1803C12C
	v_pk_mul_f32 v[226:227], v[44:45], v[226:227]              // 00000000A7AC: D3B140E2 1803C52C
	v_cvt_pk_fp8_f32 v224, v224, v225                          // 00000000A7B4: D2A200E0 0003C3E0
	v_cvt_pk_fp8_f32 v224, v226, v227 op_sel:[0,0,1]           // 00000000A7BC: D2A240E0 0003C7E2
	v_pk_mul_f32 v[228:229], v[46:47], v[228:229]              // 00000000A7C4: D3B140E4 1803C92E
	v_pk_mul_f32 v[230:231], v[46:47], v[230:231]              // 00000000A7CC: D3B140E6 1803CD2E
	v_cvt_pk_fp8_f32 v225, v228, v229                          // 00000000A7D4: D2A200E1 0003CBE4
	v_cvt_pk_fp8_f32 v225, v230, v231 op_sel:[0,0,1]           // 00000000A7DC: D2A240E1 0003CFE6
	s_waitcnt vmcnt(28)                                        // 00000000A7E4: BF8C4F7C
	v_mfma_f32_16x16x32_fp8_fp8 v[96:99], a[192:193], v[192:193], v[96:99]// 00000000A7E8: D3F30060 0D8381C0
	buffer_load_dwordx4 a[64:67], v40, s[24:27], 0 offen       // 00000000A7F0: E05C1000 80864028
	v_mfma_f32_16x16x32_fp8_fp8 v[96:99], a[194:195], v[194:195], v[96:99]// 00000000A7F8: D3F30060 0D8385C2
	v_mfma_f32_16x16x32_fp8_fp8 v[96:99], a[196:197], v[196:197], v[96:99]// 00000000A800: D3F30060 0D8389C4
	v_mfma_f32_16x16x32_fp8_fp8 v[96:99], a[198:199], v[198:199], v[96:99]// 00000000A808: D3F30060 0D838DC6
	v_mfma_f32_16x16x32_fp8_fp8 v[96:99], a[200:201], v[200:201], v[96:99]// 00000000A810: D3F30060 0D8391C8
	buffer_load_dwordx4 a[68:71], v40, s[24:27], 0 offen offset:1024// 00000000A818: E05C1400 80864428
	v_mfma_f32_16x16x32_fp8_fp8 v[96:99], a[202:203], v[202:203], v[96:99]// 00000000A820: D3F30060 0D8395CA
	v_mfma_f32_16x16x32_fp8_fp8 v[96:99], a[204:205], v[204:205], v[96:99]// 00000000A828: D3F30060 0D8399CC
	v_mfma_f32_16x16x32_fp8_fp8 v[96:99], a[206:207], v[206:207], v[96:99]// 00000000A830: D3F30060 0D839DCE
	v_pk_mul_f32 v[232:233], v[44:45], v[232:233]              // 00000000A838: D3B140E8 1803D12C
	v_pk_mul_f32 v[234:235], v[44:45], v[234:235]              // 00000000A840: D3B140EA 1803D52C
	v_cvt_pk_fp8_f32 v226, v232, v233                          // 00000000A848: D2A200E2 0003D3E8
	v_cvt_pk_fp8_f32 v226, v234, v235 op_sel:[0,0,1]           // 00000000A850: D2A240E2 0003D7EA
	v_pk_mul_f32 v[236:237], v[46:47], v[236:237]              // 00000000A858: D3B140EC 1803D92E
	v_pk_mul_f32 v[238:239], v[46:47], v[238:239]              // 00000000A860: D3B140EE 1803DD2E
	v_cvt_pk_fp8_f32 v227, v236, v237                          // 00000000A868: D2A200E3 0003DBEC
	v_cvt_pk_fp8_f32 v227, v238, v239 op_sel:[0,0,1]           // 00000000A870: D2A240E3 0003DFEE
	v_mfma_f32_16x16x32_fp8_fp8 v[100:103], a[192:193], v[208:209], v[100:103]// 00000000A878: D3F30064 0D93A1C0
	buffer_load_dwordx4 a[72:75], v40, s[24:27], 0 offen offset:2048// 00000000A880: E05C1800 80864828
	v_mfma_f32_16x16x32_fp8_fp8 v[100:103], a[194:195], v[210:211], v[100:103]// 00000000A888: D3F30064 0D93A5C2
	ds_write_b32 v12, v224 offset:2048                         // 00000000A890: D81A0800 0000E00C
	v_mfma_f32_16x16x32_fp8_fp8 v[100:103], a[196:197], v[212:213], v[100:103]// 00000000A898: D3F30064 0D93A9C4
	v_mfma_f32_16x16x32_fp8_fp8 v[100:103], a[198:199], v[214:215], v[100:103]// 00000000A8A0: D3F30064 0D93ADC6
	ds_write_b32 v12, v225 offset:6144                         // 00000000A8A8: D81A1800 0000E10C
	v_mfma_f32_16x16x32_fp8_fp8 v[100:103], a[200:201], v[216:217], v[100:103]// 00000000A8B0: D3F30064 0D93B1C8
	buffer_load_dwordx4 a[76:79], v40, s[24:27], 0 offen offset:3072// 00000000A8B8: E05C1C00 80864C28
	v_mfma_f32_16x16x32_fp8_fp8 v[100:103], a[202:203], v[218:219], v[100:103]// 00000000A8C0: D3F30064 0D93B5CA
	ds_write_b32 v12, v226 offset:3072                         // 00000000A8C8: D81A0C00 0000E20C
	v_mfma_f32_16x16x32_fp8_fp8 v[100:103], a[204:205], v[220:221], v[100:103]// 00000000A8D0: D3F30064 0D93B9CC
	v_mfma_f32_16x16x32_fp8_fp8 v[100:103], a[206:207], v[222:223], v[100:103]// 00000000A8D8: D3F30064 0D93BDCE
	ds_write_b32 v12, v227 offset:7168                         // 00000000A8E0: D81A1C00 0000E30C
	v_pk_mul_f32 v[240:241], v[44:45], v[240:241]              // 00000000A8E8: D3B140F0 1803E12C
	v_pk_mul_f32 v[242:243], v[44:45], v[242:243]              // 00000000A8F0: D3B140F2 1803E52C
	v_cvt_pk_fp8_f32 v228, v240, v241                          // 00000000A8F8: D2A200E4 0003E3F0
	v_cvt_pk_fp8_f32 v228, v242, v243 op_sel:[0,0,1]           // 00000000A900: D2A240E4 0003E7F2
	v_pk_mul_f32 v[244:245], v[46:47], v[244:245]              // 00000000A908: D3B140F4 1803E92E
	v_pk_mul_f32 v[246:247], v[46:47], v[246:247]              // 00000000A910: D3B140F6 1803ED2E
	v_cvt_pk_fp8_f32 v229, v244, v245                          // 00000000A918: D2A200E5 0003EBF4
	v_cvt_pk_fp8_f32 v229, v246, v247 op_sel:[0,0,1]           // 00000000A920: D2A240E5 0003EFF6
	s_waitcnt vmcnt(28)                                        // 00000000A928: BF8C4F7C
	v_mfma_f32_16x16x32_fp8_fp8 v[104:107], a[208:209], v[192:193], v[104:107]// 00000000A92C: D3F30068 0DA381D0
	buffer_load_dwordx4 a[80:83], v41, s[24:27], 0 offen       // 00000000A934: E05C1000 80865029
	v_mfma_f32_16x16x32_fp8_fp8 v[104:107], a[210:211], v[194:195], v[104:107]// 00000000A93C: D3F30068 0DA385D2
	v_mfma_f32_16x16x32_fp8_fp8 v[104:107], a[212:213], v[196:197], v[104:107]// 00000000A944: D3F30068 0DA389D4
	v_mfma_f32_16x16x32_fp8_fp8 v[104:107], a[214:215], v[198:199], v[104:107]// 00000000A94C: D3F30068 0DA38DD6
	v_mfma_f32_16x16x32_fp8_fp8 v[104:107], a[216:217], v[200:201], v[104:107]// 00000000A954: D3F30068 0DA391D8
	buffer_load_dwordx4 a[84:87], v41, s[24:27], 0 offen offset:1024// 00000000A95C: E05C1400 80865429
	v_mfma_f32_16x16x32_fp8_fp8 v[104:107], a[218:219], v[202:203], v[104:107]// 00000000A964: D3F30068 0DA395DA
	v_mfma_f32_16x16x32_fp8_fp8 v[104:107], a[220:221], v[204:205], v[104:107]// 00000000A96C: D3F30068 0DA399DC
	v_mfma_f32_16x16x32_fp8_fp8 v[104:107], a[222:223], v[206:207], v[104:107]// 00000000A974: D3F30068 0DA39DDE
	v_pk_mul_f32 v[248:249], v[44:45], v[248:249]              // 00000000A97C: D3B140F8 1803F12C
	v_pk_mul_f32 v[250:251], v[44:45], v[250:251]              // 00000000A984: D3B140FA 1803F52C
	v_cvt_pk_fp8_f32 v230, v248, v249                          // 00000000A98C: D2A200E6 0003F3F8
	v_cvt_pk_fp8_f32 v230, v250, v251 op_sel:[0,0,1]           // 00000000A994: D2A240E6 0003F7FA
	v_pk_mul_f32 v[252:253], v[46:47], v[252:253]              // 00000000A99C: D3B140FC 1803F92E
	v_pk_mul_f32 v[254:255], v[46:47], v[254:255]              // 00000000A9A4: D3B140FE 1803FD2E
	v_cvt_pk_fp8_f32 v231, v252, v253                          // 00000000A9AC: D2A200E7 0003FBFC
	v_cvt_pk_fp8_f32 v231, v254, v255 op_sel:[0,0,1]           // 00000000A9B4: D2A240E7 0003FFFE
	v_mfma_f32_16x16x32_fp8_fp8 v[108:111], a[208:209], v[208:209], v[108:111]// 00000000A9BC: D3F3006C 0DB3A1D0
	buffer_load_dwordx4 a[88:91], v41, s[24:27], 0 offen offset:2048// 00000000A9C4: E05C1800 80865829
	v_mfma_f32_16x16x32_fp8_fp8 v[108:111], a[210:211], v[210:211], v[108:111]// 00000000A9CC: D3F3006C 0DB3A5D2
	ds_write_b32 v12, v228 offset:4096                         // 00000000A9D4: D81A1000 0000E40C
	v_mfma_f32_16x16x32_fp8_fp8 v[108:111], a[212:213], v[212:213], v[108:111]// 00000000A9DC: D3F3006C 0DB3A9D4
	v_mfma_f32_16x16x32_fp8_fp8 v[108:111], a[214:215], v[214:215], v[108:111]// 00000000A9E4: D3F3006C 0DB3ADD6
	ds_write_b32 v12, v229 offset:8192                         // 00000000A9EC: D81A2000 0000E50C
	v_mfma_f32_16x16x32_fp8_fp8 v[108:111], a[216:217], v[216:217], v[108:111]// 00000000A9F4: D3F3006C 0DB3B1D8
	buffer_load_dwordx4 a[92:95], v41, s[24:27], 0 offen offset:3072// 00000000A9FC: E05C1C00 80865C29
	v_mfma_f32_16x16x32_fp8_fp8 v[108:111], a[218:219], v[218:219], v[108:111]// 00000000AA04: D3F3006C 0DB3B5DA
	ds_write_b32 v12, v230 offset:5120                         // 00000000AA0C: D81A1400 0000E60C
	v_mfma_f32_16x16x32_fp8_fp8 v[108:111], a[220:221], v[220:221], v[108:111]// 00000000AA14: D3F3006C 0DB3B9DC
	v_mfma_f32_16x16x32_fp8_fp8 v[108:111], a[222:223], v[222:223], v[108:111]// 00000000AA1C: D3F3006C 0DB3BDDE
	ds_write_b32 v12, v231 offset:9216                         // 00000000AA24: D81A2400 0000E70C
	s_waitcnt lgkmcnt(0)                                       // 00000000AA2C: BF8CC07F
	s_barrier                                                  // 00000000AA30: BF8A0000
	s_waitcnt vmcnt(28)                                        // 00000000AA34: BF8C4F7C
	v_mfma_f32_16x16x32_fp8_fp8 v[112:115], a[224:225], v[192:193], v[112:115]// 00000000AA38: D3F30070 0DC381E0
	buffer_load_dwordx4 a[96:99], v42, s[24:27], 0 offen       // 00000000AA40: E05C1000 8086602A
	v_mfma_f32_16x16x32_fp8_fp8 v[112:115], a[226:227], v[194:195], v[112:115]// 00000000AA48: D3F30070 0DC385E2
	ds_read_b64 v[224:225], v13 offset:2048                    // 00000000AA50: D8EC0800 E000000D
	ds_read_b64 v[226:227], v13 offset:2176                    // 00000000AA58: D8EC0880 E200000D
	v_mfma_f32_16x16x32_fp8_fp8 v[112:115], a[228:229], v[196:197], v[112:115]// 00000000AA60: D3F30070 0DC389E4
	v_mfma_f32_16x16x32_fp8_fp8 v[112:115], a[230:231], v[198:199], v[112:115]// 00000000AA68: D3F30070 0DC38DE6
	ds_read_b64 v[228:229], v13 offset:3072                    // 00000000AA70: D8EC0C00 E400000D
	ds_read_b64 v[230:231], v13 offset:3200                    // 00000000AA78: D8EC0C80 E600000D
	v_mfma_f32_16x16x32_fp8_fp8 v[112:115], a[232:233], v[200:201], v[112:115]// 00000000AA80: D3F30070 0DC391E8
	buffer_load_dwordx4 a[100:103], v42, s[24:27], 0 offen offset:1024// 00000000AA88: E05C1400 8086642A
	v_mfma_f32_16x16x32_fp8_fp8 v[112:115], a[234:235], v[202:203], v[112:115]// 00000000AA90: D3F30070 0DC395EA
	ds_read_b64 v[232:233], v13 offset:4096                    // 00000000AA98: D8EC1000 E800000D
	ds_read_b64 v[234:235], v13 offset:4224                    // 00000000AAA0: D8EC1080 EA00000D
	v_mfma_f32_16x16x32_fp8_fp8 v[112:115], a[236:237], v[204:205], v[112:115]// 00000000AAA8: D3F30070 0DC399EC
	v_mfma_f32_16x16x32_fp8_fp8 v[112:115], a[238:239], v[206:207], v[112:115]// 00000000AAB0: D3F30070 0DC39DEE
	ds_read_b64 v[236:237], v13 offset:5120                    // 00000000AAB8: D8EC1400 EC00000D
	ds_read_b64 v[238:239], v13 offset:5248                    // 00000000AAC0: D8EC1480 EE00000D
	v_mfma_f32_16x16x32_fp8_fp8 v[116:119], a[224:225], v[208:209], v[116:119]// 00000000AAC8: D3F30074 0DD3A1E0
	buffer_load_dwordx4 a[104:107], v42, s[24:27], 0 offen offset:2048// 00000000AAD0: E05C1800 8086682A
	v_mfma_f32_16x16x32_fp8_fp8 v[116:119], a[226:227], v[210:211], v[116:119]// 00000000AAD8: D3F30074 0DD3A5E2
	ds_read_b64 v[240:241], v13 offset:6144                    // 00000000AAE0: D8EC1800 F000000D
	ds_read_b64 v[242:243], v13 offset:6272                    // 00000000AAE8: D8EC1880 F200000D
	v_mfma_f32_16x16x32_fp8_fp8 v[116:119], a[228:229], v[212:213], v[116:119]// 00000000AAF0: D3F30074 0DD3A9E4
	v_mfma_f32_16x16x32_fp8_fp8 v[116:119], a[230:231], v[214:215], v[116:119]// 00000000AAF8: D3F30074 0DD3ADE6
	ds_read_b64 v[244:245], v13 offset:7168                    // 00000000AB00: D8EC1C00 F400000D
	ds_read_b64 v[246:247], v13 offset:7296                    // 00000000AB08: D8EC1C80 F600000D
	v_mfma_f32_16x16x32_fp8_fp8 v[116:119], a[232:233], v[216:217], v[116:119]// 00000000AB10: D3F30074 0DD3B1E8
	buffer_load_dwordx4 a[108:111], v42, s[24:27], 0 offen offset:3072// 00000000AB18: E05C1C00 80866C2A
	v_mfma_f32_16x16x32_fp8_fp8 v[116:119], a[234:235], v[218:219], v[116:119]// 00000000AB20: D3F30074 0DD3B5EA
	ds_read_b64 v[248:249], v13 offset:8192                    // 00000000AB28: D8EC2000 F800000D
	ds_read_b64 v[250:251], v13 offset:8320                    // 00000000AB30: D8EC2080 FA00000D
	v_mfma_f32_16x16x32_fp8_fp8 v[116:119], a[236:237], v[220:221], v[116:119]// 00000000AB38: D3F30074 0DD3B9EC
	v_mfma_f32_16x16x32_fp8_fp8 v[116:119], a[238:239], v[222:223], v[116:119]// 00000000AB40: D3F30074 0DD3BDEE
	ds_read_b64 v[252:253], v13 offset:9216                    // 00000000AB48: D8EC2400 FC00000D
	ds_read_b64 v[254:255], v13 offset:9344                    // 00000000AB50: D8EC2480 FE00000D
	s_waitcnt vmcnt(28)                                        // 00000000AB58: BF8C4F7C
	v_mfma_f32_16x16x32_fp8_fp8 v[120:123], a[240:241], v[192:193], v[120:123]// 00000000AB5C: D3F30078 0DE381F0
	buffer_load_dwordx4 a[112:115], v43, s[24:27], 0 offen     // 00000000AB64: E05C1000 8086702B
	v_mfma_f32_16x16x32_fp8_fp8 v[120:123], a[242:243], v[194:195], v[120:123]// 00000000AB6C: D3F30078 0DE385F2
	v_mfma_f32_16x16x32_fp8_fp8 v[120:123], a[244:245], v[196:197], v[120:123]// 00000000AB74: D3F30078 0DE389F4
	v_mfma_f32_16x16x32_fp8_fp8 v[120:123], a[246:247], v[198:199], v[120:123]// 00000000AB7C: D3F30078 0DE38DF6
	v_mfma_f32_16x16x32_fp8_fp8 v[120:123], a[248:249], v[200:201], v[120:123]// 00000000AB84: D3F30078 0DE391F8
	buffer_load_dwordx4 a[116:119], v43, s[24:27], 0 offen offset:1024// 00000000AB8C: E05C1400 8086742B
	v_mfma_f32_16x16x32_fp8_fp8 v[120:123], a[250:251], v[202:203], v[120:123]// 00000000AB94: D3F30078 0DE395FA
	v_mfma_f32_16x16x32_fp8_fp8 v[120:123], a[252:253], v[204:205], v[120:123]// 00000000AB9C: D3F30078 0DE399FC
	v_mfma_f32_16x16x32_fp8_fp8 v[120:123], a[254:255], v[206:207], v[120:123]// 00000000ABA4: D3F30078 0DE39DFE
	v_mfma_f32_16x16x32_fp8_fp8 v[124:127], a[240:241], v[208:209], v[124:127]// 00000000ABAC: D3F3007C 0DF3A1F0
	buffer_load_dwordx4 a[120:123], v43, s[24:27], 0 offen offset:2048// 00000000ABB4: E05C1800 8086782B
	v_mfma_f32_16x16x32_fp8_fp8 v[124:127], a[242:243], v[210:211], v[124:127]// 00000000ABBC: D3F3007C 0DF3A5F2
	v_mfma_f32_16x16x32_fp8_fp8 v[124:127], a[244:245], v[212:213], v[124:127]// 00000000ABC4: D3F3007C 0DF3A9F4
	v_mfma_f32_16x16x32_fp8_fp8 v[124:127], a[246:247], v[214:215], v[124:127]// 00000000ABCC: D3F3007C 0DF3ADF6
	v_mfma_f32_16x16x32_fp8_fp8 v[124:127], a[248:249], v[216:217], v[124:127]// 00000000ABD4: D3F3007C 0DF3B1F8
	buffer_load_dwordx4 a[124:127], v43, s[24:27], 0 offen offset:3072// 00000000ABDC: E05C1C00 80867C2B
	v_mfma_f32_16x16x32_fp8_fp8 v[124:127], a[250:251], v[218:219], v[124:127]// 00000000ABE4: D3F3007C 0DF3B5FA
	v_mfma_f32_16x16x32_fp8_fp8 v[124:127], a[252:253], v[220:221], v[124:127]// 00000000ABEC: D3F3007C 0DF3B9FC
	v_mfma_f32_16x16x32_fp8_fp8 v[124:127], a[254:255], v[222:223], v[124:127]// 00000000ABF4: D3F3007C 0DF3BDFE
	s_add_u32 s60, 0x200, s80                                  // 00000000ABFC: 803C50FF 00000200
	s_cmp_lt_u32 s60, s81                                      // 00000000AC04: BF0A513C
	s_cselect_b32 s57, s57, 0                                  // 00000000AC08: 85398039
	s_cselect_b32 s91, s91, 0                                  // 00000000AC0C: 855B805B
	s_add_u32 s60, 0x200, s80                                  // 00000000AC10: 803C50FF 00000200
	s_cmp_lt_u32 s60, s81                                      // 00000000AC18: BF0A513C
	s_cselect_b32 s58, s58, 0                                  // 00000000AC1C: 853A803A
	s_add_u32 s20, s57, s20                                    // 00000000AC20: 80141439
	s_addc_u32 s21, 0, s21                                     // 00000000AC24: 82151580
	s_add_u32 s28, s91, s28                                    // 00000000AC28: 801C1C5B
	s_addc_u32 s29, 0, s29                                     // 00000000AC2C: 821D1D80
	s_add_u32 s24, s58, s24                                    // 00000000AC30: 8018183A
	s_addc_u32 s25, 0, s25                                     // 00000000AC34: 82191980
	s_add_u32 s92, s90, s92                                    // 00000000AC38: 805C5C5A
	s_addc_u32 s93, 0, s93                                     // 00000000AC3C: 825D5D80
	v_mov_b32_e32 v44, v24                                     // 00000000AC40: 7E580318
	v_mov_b32_e32 v46, v25                                     // 00000000AC44: 7E5C0319
	v_mov_b32_e32 v45, v44                                     // 00000000AC48: 7E5A032C
	v_mov_b32_e32 v47, v46                                     // 00000000AC4C: 7E5E032E
	v_pk_mul_f32 v[64:65], v[44:45], v[64:65]                  // 00000000AC50: D3B14040 1802812C
	v_pk_mul_f32 v[66:67], v[44:45], v[66:67]                  // 00000000AC58: D3B14042 1802852C
	v_pk_mul_f32 v[68:69], v[46:47], v[68:69]                  // 00000000AC60: D3B14044 1802892E
	v_pk_mul_f32 v[70:71], v[46:47], v[70:71]                  // 00000000AC68: D3B14046 18028D2E
	v_pk_mul_f32 v[72:73], v[44:45], v[72:73]                  // 00000000AC70: D3B14048 1802912C
	v_pk_mul_f32 v[74:75], v[44:45], v[74:75]                  // 00000000AC78: D3B1404A 1802952C
	v_pk_mul_f32 v[76:77], v[46:47], v[76:77]                  // 00000000AC80: D3B1404C 1802992E
	v_pk_mul_f32 v[78:79], v[46:47], v[78:79]                  // 00000000AC88: D3B1404E 18029D2E
	v_pk_mul_f32 v[80:81], v[44:45], v[80:81]                  // 00000000AC90: D3B14050 1802A12C
	v_pk_mul_f32 v[82:83], v[44:45], v[82:83]                  // 00000000AC98: D3B14052 1802A52C
	v_pk_mul_f32 v[84:85], v[46:47], v[84:85]                  // 00000000ACA0: D3B14054 1802A92E
	v_pk_mul_f32 v[86:87], v[46:47], v[86:87]                  // 00000000ACA8: D3B14056 1802AD2E
	v_pk_mul_f32 v[88:89], v[44:45], v[88:89]                  // 00000000ACB0: D3B14058 1802B12C
	v_pk_mul_f32 v[90:91], v[44:45], v[90:91]                  // 00000000ACB8: D3B1405A 1802B52C
	v_pk_mul_f32 v[92:93], v[46:47], v[92:93]                  // 00000000ACC0: D3B1405C 1802B92E
	v_pk_mul_f32 v[94:95], v[46:47], v[94:95]                  // 00000000ACC8: D3B1405E 1802BD2E
	v_pk_mul_f32 v[96:97], v[44:45], v[96:97]                  // 00000000ACD0: D3B14060 1802C12C
	v_pk_mul_f32 v[98:99], v[44:45], v[98:99]                  // 00000000ACD8: D3B14062 1802C52C
	v_pk_mul_f32 v[100:101], v[46:47], v[100:101]              // 00000000ACE0: D3B14064 1802C92E
	v_pk_mul_f32 v[102:103], v[46:47], v[102:103]              // 00000000ACE8: D3B14066 1802CD2E
	v_pk_mul_f32 v[104:105], v[44:45], v[104:105]              // 00000000ACF0: D3B14068 1802D12C
	v_pk_mul_f32 v[106:107], v[44:45], v[106:107]              // 00000000ACF8: D3B1406A 1802D52C
	v_pk_mul_f32 v[108:109], v[46:47], v[108:109]              // 00000000AD00: D3B1406C 1802D92E
	v_pk_mul_f32 v[110:111], v[46:47], v[110:111]              // 00000000AD08: D3B1406E 1802DD2E
	v_pk_mul_f32 v[112:113], v[44:45], v[112:113]              // 00000000AD10: D3B14070 1802E12C
	v_pk_mul_f32 v[114:115], v[44:45], v[114:115]              // 00000000AD18: D3B14072 1802E52C
	v_pk_mul_f32 v[116:117], v[46:47], v[116:117]              // 00000000AD20: D3B14074 1802E92E
	v_pk_mul_f32 v[118:119], v[46:47], v[118:119]              // 00000000AD28: D3B14076 1802ED2E
	v_pk_mul_f32 v[120:121], v[44:45], v[120:121]              // 00000000AD30: D3B14078 1802F12C
	v_pk_mul_f32 v[122:123], v[44:45], v[122:123]              // 00000000AD38: D3B1407A 1802F52C
	v_pk_mul_f32 v[124:125], v[46:47], v[124:125]              // 00000000AD40: D3B1407C 1802F92E
	v_pk_mul_f32 v[126:127], v[46:47], v[126:127]              // 00000000AD48: D3B1407E 1802FD2E
	s_addk_i32 s80, 0x100                                      // 00000000AD50: B7500100
	s_cmp_lt_i32 s80, s81                                      // 00000000AD54: BF045150
	s_cbranch_scc0 label_252C                                  // 00000000AD58: BF840555
	v_rcp_f32_e32 v44, v26                                     // 00000000AD5C: 7E58451A
	v_rcp_f32_e32 v46, v27                                     // 00000000AD60: 7E5C451B
	v_mov_b32_e32 v45, v44                                     // 00000000AD64: 7E5A032C
	v_mov_b32_e32 v47, v46                                     // 00000000AD68: 7E5E032E
	v_pk_mul_f32 v[128:129], v[44:45], v[128:129]              // 00000000AD6C: D3B14080 1803012C
	v_pk_mul_f32 v[130:131], v[44:45], v[130:131]              // 00000000AD74: D3B14082 1803052C
	v_pk_mul_f32 v[132:133], v[46:47], v[132:133]              // 00000000AD7C: D3B14084 1803092E
	v_pk_mul_f32 v[134:135], v[46:47], v[134:135]              // 00000000AD84: D3B14086 18030D2E
	v_pk_mul_f32 v[136:137], v[44:45], v[136:137]              // 00000000AD8C: D3B14088 1803112C
	v_pk_mul_f32 v[138:139], v[44:45], v[138:139]              // 00000000AD94: D3B1408A 1803152C
	v_pk_mul_f32 v[140:141], v[46:47], v[140:141]              // 00000000AD9C: D3B1408C 1803192E
	v_pk_mul_f32 v[142:143], v[46:47], v[142:143]              // 00000000ADA4: D3B1408E 18031D2E
	v_pk_mul_f32 v[144:145], v[44:45], v[144:145]              // 00000000ADAC: D3B14090 1803212C
	v_pk_mul_f32 v[146:147], v[44:45], v[146:147]              // 00000000ADB4: D3B14092 1803252C
	v_pk_mul_f32 v[148:149], v[46:47], v[148:149]              // 00000000ADBC: D3B14094 1803292E
	v_pk_mul_f32 v[150:151], v[46:47], v[150:151]              // 00000000ADC4: D3B14096 18032D2E
	v_pk_mul_f32 v[152:153], v[44:45], v[152:153]              // 00000000ADCC: D3B14098 1803312C
	v_pk_mul_f32 v[154:155], v[44:45], v[154:155]              // 00000000ADD4: D3B1409A 1803352C
	v_pk_mul_f32 v[156:157], v[46:47], v[156:157]              // 00000000ADDC: D3B1409C 1803392E
	v_pk_mul_f32 v[158:159], v[46:47], v[158:159]              // 00000000ADE4: D3B1409E 18033D2E
	v_pk_mul_f32 v[160:161], v[44:45], v[160:161]              // 00000000ADEC: D3B140A0 1803412C
	v_pk_mul_f32 v[162:163], v[44:45], v[162:163]              // 00000000ADF4: D3B140A2 1803452C
	v_pk_mul_f32 v[164:165], v[46:47], v[164:165]              // 00000000ADFC: D3B140A4 1803492E
	v_pk_mul_f32 v[166:167], v[46:47], v[166:167]              // 00000000AE04: D3B140A6 18034D2E
	v_pk_mul_f32 v[168:169], v[44:45], v[168:169]              // 00000000AE0C: D3B140A8 1803512C
	v_pk_mul_f32 v[170:171], v[44:45], v[170:171]              // 00000000AE14: D3B140AA 1803552C
	v_pk_mul_f32 v[172:173], v[46:47], v[172:173]              // 00000000AE1C: D3B140AC 1803592E
	v_pk_mul_f32 v[174:175], v[46:47], v[174:175]              // 00000000AE24: D3B140AE 18035D2E
	v_pk_mul_f32 v[176:177], v[44:45], v[176:177]              // 00000000AE2C: D3B140B0 1803612C
	v_pk_mul_f32 v[178:179], v[44:45], v[178:179]              // 00000000AE34: D3B140B2 1803652C
	v_pk_mul_f32 v[180:181], v[46:47], v[180:181]              // 00000000AE3C: D3B140B4 1803692E
	v_pk_mul_f32 v[182:183], v[46:47], v[182:183]              // 00000000AE44: D3B140B6 18036D2E
	v_pk_mul_f32 v[184:185], v[44:45], v[184:185]              // 00000000AE4C: D3B140B8 1803712C
	v_pk_mul_f32 v[186:187], v[44:45], v[186:187]              // 00000000AE54: D3B140BA 1803752C
	v_pk_mul_f32 v[188:189], v[46:47], v[188:189]              // 00000000AE5C: D3B140BC 1803792E
	v_pk_mul_f32 v[190:191], v[46:47], v[190:191]              // 00000000AE64: D3B140BE 18037D2E
	s_waitcnt vmcnt(24) lgkmcnt(0)                             // 00000000AE6C: BF8C4078
	s_barrier                                                  // 00000000AE70: BF8A0000
	v_mfma_f32_16x16x32_fp8_fp8 v[128:131], a[0:1], v[224:225], v[128:131]// 00000000AE74: D3F30080 0E03C100
	buffer_load_dwordx4 a[128:131], v36, s[92:95], 0 offen     // 00000000AE7C: E05C1000 80978024
	v_mfma_f32_16x16x32_fp8_fp8 v[128:131], a[2:3], v[226:227], v[128:131]// 00000000AE84: D3F30080 0E03C502
	v_mfma_f32_16x16x32_fp8_fp8 v[128:131], a[4:5], v[228:229], v[128:131]// 00000000AE8C: D3F30080 0E03C904
	buffer_load_dword v28, s[20:23], 0 offen lds               // 00000000AE94: E0511000 8005001C
	buffer_load_dword v28, s[20:23], 0 offen offset:256 lds    // 00000000AE9C: E0511100 8005001C
	s_add_u32 m0, 0x820, s50                                   // 00000000AEA4: 807C32FF 00000820
	v_mfma_f32_16x16x32_fp8_fp8 v[128:131], a[6:7], v[230:231], v[128:131]// 00000000AEAC: D3F30080 0E03CD06
	v_mfma_f32_16x16x32_fp8_fp8 v[128:131], a[8:9], v[232:233], v[128:131]// 00000000AEB4: D3F30080 0E03D108
	buffer_load_dwordx4 a[132:135], v36, s[92:95], 0 offen offset:1024// 00000000AEBC: E05C1400 80978424
	v_mfma_f32_16x16x32_fp8_fp8 v[128:131], a[10:11], v[234:235], v[128:131]// 00000000AEC4: D3F30080 0E03D50A
	v_mfma_f32_16x16x32_fp8_fp8 v[128:131], a[12:13], v[236:237], v[128:131]// 00000000AECC: D3F30080 0E03D90C
	buffer_load_dword v29, s[20:23], 0 offen lds               // 00000000AED4: E0511000 8005001D
	buffer_load_dword v29, s[20:23], 0 offen offset:256 lds    // 00000000AEDC: E0511100 8005001D
	s_add_u32 m0, 0x1040, s50                                  // 00000000AEE4: 807C32FF 00001040
	v_mfma_f32_16x16x32_fp8_fp8 v[128:131], a[14:15], v[238:239], v[128:131]// 00000000AEEC: D3F30080 0E03DD0E
	v_mfma_f32_16x16x32_fp8_fp8 v[132:135], a[0:1], v[240:241], v[132:135]// 00000000AEF4: D3F30084 0E13E100
	buffer_load_dwordx4 a[136:139], v36, s[92:95], 0 offen offset:2048// 00000000AEFC: E05C1800 80978824
	v_mfma_f32_16x16x32_fp8_fp8 v[132:135], a[2:3], v[242:243], v[132:135]// 00000000AF04: D3F30084 0E13E502
	v_mfma_f32_16x16x32_fp8_fp8 v[132:135], a[4:5], v[244:245], v[132:135]// 00000000AF0C: D3F30084 0E13E904
	buffer_load_dword v30, s[20:23], 0 offen lds               // 00000000AF14: E0511000 8005001E
	buffer_load_dword v30, s[20:23], 0 offen offset:256 lds    // 00000000AF1C: E0511100 8005001E
	s_add_u32 m0, 0x1860, s50                                  // 00000000AF24: 807C32FF 00001860
	v_mfma_f32_16x16x32_fp8_fp8 v[132:135], a[6:7], v[246:247], v[132:135]// 00000000AF2C: D3F30084 0E13ED06
	v_mfma_f32_16x16x32_fp8_fp8 v[132:135], a[8:9], v[248:249], v[132:135]// 00000000AF34: D3F30084 0E13F108
	buffer_load_dwordx4 a[140:143], v36, s[92:95], 0 offen offset:3072// 00000000AF3C: E05C1C00 80978C24
	v_mfma_f32_16x16x32_fp8_fp8 v[132:135], a[10:11], v[250:251], v[132:135]// 00000000AF44: D3F30084 0E13F50A
	v_mfma_f32_16x16x32_fp8_fp8 v[132:135], a[12:13], v[252:253], v[132:135]// 00000000AF4C: D3F30084 0E13F90C
	buffer_load_dword v31, s[20:23], 0 offen lds               // 00000000AF54: E0511000 8005001F
	buffer_load_dword v31, s[20:23], 0 offen offset:256 lds    // 00000000AF5C: E0511100 8005001F
	s_add_u32 m0, 0x2080, s50                                  // 00000000AF64: 807C32FF 00002080
	v_mfma_f32_16x16x32_fp8_fp8 v[132:135], a[14:15], v[254:255], v[132:135]// 00000000AF6C: D3F30084 0E13FD0E
	v_mfma_f32_16x16x32_fp8_fp8 v[136:139], a[16:17], v[224:225], v[136:139]// 00000000AF74: D3F30088 0E23C110
	buffer_load_dwordx4 a[144:147], v37, s[92:95], 0 offen     // 00000000AF7C: E05C1000 80979025
	v_mfma_f32_16x16x32_fp8_fp8 v[136:139], a[18:19], v[226:227], v[136:139]// 00000000AF84: D3F30088 0E23C512
	v_mfma_f32_16x16x32_fp8_fp8 v[136:139], a[20:21], v[228:229], v[136:139]// 00000000AF8C: D3F30088 0E23C914
	buffer_load_dword v32, s[20:23], 0 offen lds               // 00000000AF94: E0511000 80050020
	buffer_load_dword v32, s[20:23], 0 offen offset:256 lds    // 00000000AF9C: E0511100 80050020
	s_add_u32 m0, 0x28a0, s50                                  // 00000000AFA4: 807C32FF 000028A0
	v_mfma_f32_16x16x32_fp8_fp8 v[136:139], a[22:23], v[230:231], v[136:139]// 00000000AFAC: D3F30088 0E23CD16
	v_mfma_f32_16x16x32_fp8_fp8 v[136:139], a[24:25], v[232:233], v[136:139]// 00000000AFB4: D3F30088 0E23D118
	buffer_load_dwordx4 a[148:151], v37, s[92:95], 0 offen offset:1024// 00000000AFBC: E05C1400 80979425
	v_mfma_f32_16x16x32_fp8_fp8 v[136:139], a[26:27], v[234:235], v[136:139]// 00000000AFC4: D3F30088 0E23D51A
	v_mfma_f32_16x16x32_fp8_fp8 v[136:139], a[28:29], v[236:237], v[136:139]// 00000000AFCC: D3F30088 0E23D91C
	buffer_load_dword v33, s[20:23], 0 offen lds               // 00000000AFD4: E0511000 80050021
	buffer_load_dword v33, s[20:23], 0 offen offset:256 lds    // 00000000AFDC: E0511100 80050021
	s_add_u32 m0, 0x30c0, s50                                  // 00000000AFE4: 807C32FF 000030C0
	v_mfma_f32_16x16x32_fp8_fp8 v[136:139], a[30:31], v[238:239], v[136:139]// 00000000AFEC: D3F30088 0E23DD1E
	v_mfma_f32_16x16x32_fp8_fp8 v[140:143], a[16:17], v[240:241], v[140:143]// 00000000AFF4: D3F3008C 0E33E110
	buffer_load_dwordx4 a[152:155], v37, s[92:95], 0 offen offset:2048// 00000000AFFC: E05C1800 80979825
	v_mfma_f32_16x16x32_fp8_fp8 v[140:143], a[18:19], v[242:243], v[140:143]// 00000000B004: D3F3008C 0E33E512
	v_mfma_f32_16x16x32_fp8_fp8 v[140:143], a[20:21], v[244:245], v[140:143]// 00000000B00C: D3F3008C 0E33E914
	buffer_load_dword v34, s[20:23], 0 offen lds               // 00000000B014: E0511000 80050022
	buffer_load_dword v34, s[20:23], 0 offen offset:256 lds    // 00000000B01C: E0511100 80050022
	s_add_u32 m0, 0x38e0, s50                                  // 00000000B024: 807C32FF 000038E0
	v_mfma_f32_16x16x32_fp8_fp8 v[140:143], a[22:23], v[246:247], v[140:143]// 00000000B02C: D3F3008C 0E33ED16
	v_mfma_f32_16x16x32_fp8_fp8 v[140:143], a[24:25], v[248:249], v[140:143]// 00000000B034: D3F3008C 0E33F118
	buffer_load_dwordx4 a[156:159], v37, s[92:95], 0 offen offset:3072// 00000000B03C: E05C1C00 80979C25
	v_mfma_f32_16x16x32_fp8_fp8 v[140:143], a[26:27], v[250:251], v[140:143]// 00000000B044: D3F3008C 0E33F51A
	v_mfma_f32_16x16x32_fp8_fp8 v[140:143], a[28:29], v[252:253], v[140:143]// 00000000B04C: D3F3008C 0E33F91C
	buffer_load_dword v35, s[20:23], 0 offen lds               // 00000000B054: E0511000 80050023
	buffer_load_dword v35, s[20:23], 0 offen offset:256 lds    // 00000000B05C: E0511100 80050023
	s_add_u32 m0, 0, s51                                       // 00000000B064: 807C3380
	v_mfma_f32_16x16x32_fp8_fp8 v[140:143], a[30:31], v[254:255], v[140:143]// 00000000B068: D3F3008C 0E33FD1E
	buffer_load_dword v14, v6, s[28:31], 0 offen               // 00000000B070: E0501000 80070E06
	s_waitcnt vmcnt(45)                                        // 00000000B078: BF8C8F7D
	v_mfma_f32_16x16x32_fp8_fp8 v[144:147], a[32:33], v[224:225], v[144:147]// 00000000B07C: D3F30090 0E43C120
	buffer_load_dwordx4 a[160:163], v38, s[92:95], 0 offen     // 00000000B084: E05C1000 8097A026
	v_mfma_f32_16x16x32_fp8_fp8 v[144:147], a[34:35], v[226:227], v[144:147]// 00000000B08C: D3F30090 0E43C522
	v_mfma_f32_16x16x32_fp8_fp8 v[144:147], a[36:37], v[228:229], v[144:147]// 00000000B094: D3F30090 0E43C924
	v_mfma_f32_16x16x32_fp8_fp8 v[144:147], a[38:39], v[230:231], v[144:147]// 00000000B09C: D3F30090 0E43CD26
	v_mfma_f32_16x16x32_fp8_fp8 v[144:147], a[40:41], v[232:233], v[144:147]// 00000000B0A4: D3F30090 0E43D128
	buffer_load_dwordx4 a[164:167], v38, s[92:95], 0 offen offset:1024// 00000000B0AC: E05C1400 8097A426
	v_mfma_f32_16x16x32_fp8_fp8 v[144:147], a[42:43], v[234:235], v[144:147]// 00000000B0B4: D3F30090 0E43D52A
	v_mfma_f32_16x16x32_fp8_fp8 v[144:147], a[44:45], v[236:237], v[144:147]// 00000000B0BC: D3F30090 0E43D92C
	v_mfma_f32_16x16x32_fp8_fp8 v[144:147], a[46:47], v[238:239], v[144:147]// 00000000B0C4: D3F30090 0E43DD2E
	v_mfma_f32_16x16x32_fp8_fp8 v[148:151], a[32:33], v[240:241], v[148:151]// 00000000B0CC: D3F30094 0E53E120
	buffer_load_dwordx4 a[168:171], v38, s[92:95], 0 offen offset:2048// 00000000B0D4: E05C1800 8097A826
	v_mfma_f32_16x16x32_fp8_fp8 v[148:151], a[34:35], v[242:243], v[148:151]// 00000000B0DC: D3F30094 0E53E522
	v_mfma_f32_16x16x32_fp8_fp8 v[148:151], a[36:37], v[244:245], v[148:151]// 00000000B0E4: D3F30094 0E53E924
	v_mfma_f32_16x16x32_fp8_fp8 v[148:151], a[38:39], v[246:247], v[148:151]// 00000000B0EC: D3F30094 0E53ED26
	v_mfma_f32_16x16x32_fp8_fp8 v[148:151], a[40:41], v[248:249], v[148:151]// 00000000B0F4: D3F30094 0E53F128
	buffer_load_dwordx4 a[172:175], v38, s[92:95], 0 offen offset:3072// 00000000B0FC: E05C1C00 8097AC26
	v_mfma_f32_16x16x32_fp8_fp8 v[148:151], a[42:43], v[250:251], v[148:151]// 00000000B104: D3F30094 0E53F52A
	v_mfma_f32_16x16x32_fp8_fp8 v[148:151], a[44:45], v[252:253], v[148:151]// 00000000B10C: D3F30094 0E53F92C
	v_mfma_f32_16x16x32_fp8_fp8 v[148:151], a[46:47], v[254:255], v[148:151]// 00000000B114: D3F30094 0E53FD2E
	s_waitcnt vmcnt(45)                                        // 00000000B11C: BF8C8F7D
	v_mfma_f32_16x16x32_fp8_fp8 v[152:155], a[48:49], v[224:225], v[152:155]// 00000000B120: D3F30098 0E63C130
	buffer_load_dwordx4 a[176:179], v39, s[92:95], 0 offen     // 00000000B128: E05C1000 8097B027
	v_mfma_f32_16x16x32_fp8_fp8 v[152:155], a[50:51], v[226:227], v[152:155]// 00000000B130: D3F30098 0E63C532
	v_mfma_f32_16x16x32_fp8_fp8 v[152:155], a[52:53], v[228:229], v[152:155]// 00000000B138: D3F30098 0E63C934
	v_mfma_f32_16x16x32_fp8_fp8 v[152:155], a[54:55], v[230:231], v[152:155]// 00000000B140: D3F30098 0E63CD36
	v_mfma_f32_16x16x32_fp8_fp8 v[152:155], a[56:57], v[232:233], v[152:155]// 00000000B148: D3F30098 0E63D138
	buffer_load_dwordx4 a[180:183], v39, s[92:95], 0 offen offset:1024// 00000000B150: E05C1400 8097B427
	v_mfma_f32_16x16x32_fp8_fp8 v[152:155], a[58:59], v[234:235], v[152:155]// 00000000B158: D3F30098 0E63D53A
	v_mfma_f32_16x16x32_fp8_fp8 v[152:155], a[60:61], v[236:237], v[152:155]// 00000000B160: D3F30098 0E63D93C
	v_mfma_f32_16x16x32_fp8_fp8 v[152:155], a[62:63], v[238:239], v[152:155]// 00000000B168: D3F30098 0E63DD3E
	v_mfma_f32_16x16x32_fp8_fp8 v[156:159], a[48:49], v[240:241], v[156:159]// 00000000B170: D3F3009C 0E73E130
	buffer_load_dwordx4 a[184:187], v39, s[92:95], 0 offen offset:2048// 00000000B178: E05C1800 8097B827
	v_mfma_f32_16x16x32_fp8_fp8 v[156:159], a[50:51], v[242:243], v[156:159]// 00000000B180: D3F3009C 0E73E532
	v_mfma_f32_16x16x32_fp8_fp8 v[156:159], a[52:53], v[244:245], v[156:159]// 00000000B188: D3F3009C 0E73E934
	v_mfma_f32_16x16x32_fp8_fp8 v[156:159], a[54:55], v[246:247], v[156:159]// 00000000B190: D3F3009C 0E73ED36
	v_mfma_f32_16x16x32_fp8_fp8 v[156:159], a[56:57], v[248:249], v[156:159]// 00000000B198: D3F3009C 0E73F138
	buffer_load_dwordx4 a[188:191], v39, s[92:95], 0 offen offset:3072// 00000000B1A0: E05C1C00 8097BC27
	v_mfma_f32_16x16x32_fp8_fp8 v[156:159], a[58:59], v[250:251], v[156:159]// 00000000B1A8: D3F3009C 0E73F53A
	v_mfma_f32_16x16x32_fp8_fp8 v[156:159], a[60:61], v[252:253], v[156:159]// 00000000B1B0: D3F3009C 0E73F93C
	v_mfma_f32_16x16x32_fp8_fp8 v[156:159], a[62:63], v[254:255], v[156:159]// 00000000B1B8: D3F3009C 0E73FD3E
	s_waitcnt vmcnt(45)                                        // 00000000B1C0: BF8C8F7D
	v_mfma_f32_16x16x32_fp8_fp8 v[160:163], a[64:65], v[224:225], v[160:163]// 00000000B1C4: D3F300A0 0E83C140
	buffer_load_dwordx4 a[192:195], v40, s[92:95], 0 offen     // 00000000B1CC: E05C1000 8097C028
	v_mfma_f32_16x16x32_fp8_fp8 v[160:163], a[66:67], v[226:227], v[160:163]// 00000000B1D4: D3F300A0 0E83C542
	v_mfma_f32_16x16x32_fp8_fp8 v[160:163], a[68:69], v[228:229], v[160:163]// 00000000B1DC: D3F300A0 0E83C944
	v_mfma_f32_16x16x32_fp8_fp8 v[160:163], a[70:71], v[230:231], v[160:163]// 00000000B1E4: D3F300A0 0E83CD46
	v_mfma_f32_16x16x32_fp8_fp8 v[160:163], a[72:73], v[232:233], v[160:163]// 00000000B1EC: D3F300A0 0E83D148
	buffer_load_dwordx4 a[196:199], v40, s[92:95], 0 offen offset:1024// 00000000B1F4: E05C1400 8097C428
	v_mfma_f32_16x16x32_fp8_fp8 v[160:163], a[74:75], v[234:235], v[160:163]// 00000000B1FC: D3F300A0 0E83D54A
	v_mfma_f32_16x16x32_fp8_fp8 v[160:163], a[76:77], v[236:237], v[160:163]// 00000000B204: D3F300A0 0E83D94C
	v_mfma_f32_16x16x32_fp8_fp8 v[160:163], a[78:79], v[238:239], v[160:163]// 00000000B20C: D3F300A0 0E83DD4E
	v_mfma_f32_16x16x32_fp8_fp8 v[164:167], a[64:65], v[240:241], v[164:167]// 00000000B214: D3F300A4 0E93E140
	buffer_load_dwordx4 a[200:203], v40, s[92:95], 0 offen offset:2048// 00000000B21C: E05C1800 8097C828
	v_mfma_f32_16x16x32_fp8_fp8 v[164:167], a[66:67], v[242:243], v[164:167]// 00000000B224: D3F300A4 0E93E542
	v_mfma_f32_16x16x32_fp8_fp8 v[164:167], a[68:69], v[244:245], v[164:167]// 00000000B22C: D3F300A4 0E93E944
	v_mfma_f32_16x16x32_fp8_fp8 v[164:167], a[70:71], v[246:247], v[164:167]// 00000000B234: D3F300A4 0E93ED46
	v_mfma_f32_16x16x32_fp8_fp8 v[164:167], a[72:73], v[248:249], v[164:167]// 00000000B23C: D3F300A4 0E93F148
	buffer_load_dwordx4 a[204:207], v40, s[92:95], 0 offen offset:3072// 00000000B244: E05C1C00 8097CC28
	v_mfma_f32_16x16x32_fp8_fp8 v[164:167], a[74:75], v[250:251], v[164:167]// 00000000B24C: D3F300A4 0E93F54A
	v_mfma_f32_16x16x32_fp8_fp8 v[164:167], a[76:77], v[252:253], v[164:167]// 00000000B254: D3F300A4 0E93F94C
	v_mfma_f32_16x16x32_fp8_fp8 v[164:167], a[78:79], v[254:255], v[164:167]// 00000000B25C: D3F300A4 0E93FD4E
	s_waitcnt vmcnt(45)                                        // 00000000B264: BF8C8F7D
	v_mfma_f32_16x16x32_fp8_fp8 v[168:171], a[80:81], v[224:225], v[168:171]// 00000000B268: D3F300A8 0EA3C150
	buffer_load_dwordx4 a[208:211], v41, s[92:95], 0 offen     // 00000000B270: E05C1000 8097D029
	v_mfma_f32_16x16x32_fp8_fp8 v[168:171], a[82:83], v[226:227], v[168:171]// 00000000B278: D3F300A8 0EA3C552
	v_mfma_f32_16x16x32_fp8_fp8 v[168:171], a[84:85], v[228:229], v[168:171]// 00000000B280: D3F300A8 0EA3C954
	v_mfma_f32_16x16x32_fp8_fp8 v[168:171], a[86:87], v[230:231], v[168:171]// 00000000B288: D3F300A8 0EA3CD56
	v_mfma_f32_16x16x32_fp8_fp8 v[168:171], a[88:89], v[232:233], v[168:171]// 00000000B290: D3F300A8 0EA3D158
	buffer_load_dwordx4 a[212:215], v41, s[92:95], 0 offen offset:1024// 00000000B298: E05C1400 8097D429
	v_mfma_f32_16x16x32_fp8_fp8 v[168:171], a[90:91], v[234:235], v[168:171]// 00000000B2A0: D3F300A8 0EA3D55A
	v_mfma_f32_16x16x32_fp8_fp8 v[168:171], a[92:93], v[236:237], v[168:171]// 00000000B2A8: D3F300A8 0EA3D95C
	v_mfma_f32_16x16x32_fp8_fp8 v[168:171], a[94:95], v[238:239], v[168:171]// 00000000B2B0: D3F300A8 0EA3DD5E
	v_mfma_f32_16x16x32_fp8_fp8 v[172:175], a[80:81], v[240:241], v[172:175]// 00000000B2B8: D3F300AC 0EB3E150
	buffer_load_dwordx4 a[216:219], v41, s[92:95], 0 offen offset:2048// 00000000B2C0: E05C1800 8097D829
	v_mfma_f32_16x16x32_fp8_fp8 v[172:175], a[82:83], v[242:243], v[172:175]// 00000000B2C8: D3F300AC 0EB3E552
	v_mfma_f32_16x16x32_fp8_fp8 v[172:175], a[84:85], v[244:245], v[172:175]// 00000000B2D0: D3F300AC 0EB3E954
	v_mfma_f32_16x16x32_fp8_fp8 v[172:175], a[86:87], v[246:247], v[172:175]// 00000000B2D8: D3F300AC 0EB3ED56
	v_mfma_f32_16x16x32_fp8_fp8 v[172:175], a[88:89], v[248:249], v[172:175]// 00000000B2E0: D3F300AC 0EB3F158
	buffer_load_dwordx4 a[220:223], v41, s[92:95], 0 offen offset:3072// 00000000B2E8: E05C1C00 8097DC29
	v_mfma_f32_16x16x32_fp8_fp8 v[172:175], a[90:91], v[250:251], v[172:175]// 00000000B2F0: D3F300AC 0EB3F55A
	v_mfma_f32_16x16x32_fp8_fp8 v[172:175], a[92:93], v[252:253], v[172:175]// 00000000B2F8: D3F300AC 0EB3F95C
	v_mfma_f32_16x16x32_fp8_fp8 v[172:175], a[94:95], v[254:255], v[172:175]// 00000000B300: D3F300AC 0EB3FD5E
	s_waitcnt vmcnt(45)                                        // 00000000B308: BF8C8F7D
	v_mfma_f32_16x16x32_fp8_fp8 v[176:179], a[96:97], v[224:225], v[176:179]// 00000000B30C: D3F300B0 0EC3C160
	buffer_load_dwordx4 a[224:227], v42, s[92:95], 0 offen     // 00000000B314: E05C1000 8097E02A
	v_mfma_f32_16x16x32_fp8_fp8 v[176:179], a[98:99], v[226:227], v[176:179]// 00000000B31C: D3F300B0 0EC3C562
	v_mfma_f32_16x16x32_fp8_fp8 v[176:179], a[100:101], v[228:229], v[176:179]// 00000000B324: D3F300B0 0EC3C964
	v_mfma_f32_16x16x32_fp8_fp8 v[176:179], a[102:103], v[230:231], v[176:179]// 00000000B32C: D3F300B0 0EC3CD66
	v_mfma_f32_16x16x32_fp8_fp8 v[176:179], a[104:105], v[232:233], v[176:179]// 00000000B334: D3F300B0 0EC3D168
	buffer_load_dwordx4 a[228:231], v42, s[92:95], 0 offen offset:1024// 00000000B33C: E05C1400 8097E42A
	v_mfma_f32_16x16x32_fp8_fp8 v[176:179], a[106:107], v[234:235], v[176:179]// 00000000B344: D3F300B0 0EC3D56A
	v_mfma_f32_16x16x32_fp8_fp8 v[176:179], a[108:109], v[236:237], v[176:179]// 00000000B34C: D3F300B0 0EC3D96C
	v_mfma_f32_16x16x32_fp8_fp8 v[176:179], a[110:111], v[238:239], v[176:179]// 00000000B354: D3F300B0 0EC3DD6E
	v_mfma_f32_16x16x32_fp8_fp8 v[180:183], a[96:97], v[240:241], v[180:183]// 00000000B35C: D3F300B4 0ED3E160
	buffer_load_dwordx4 a[232:235], v42, s[92:95], 0 offen offset:2048// 00000000B364: E05C1800 8097E82A
	v_mfma_f32_16x16x32_fp8_fp8 v[180:183], a[98:99], v[242:243], v[180:183]// 00000000B36C: D3F300B4 0ED3E562
	v_mfma_f32_16x16x32_fp8_fp8 v[180:183], a[100:101], v[244:245], v[180:183]// 00000000B374: D3F300B4 0ED3E964
	v_mfma_f32_16x16x32_fp8_fp8 v[180:183], a[102:103], v[246:247], v[180:183]// 00000000B37C: D3F300B4 0ED3ED66
	v_mfma_f32_16x16x32_fp8_fp8 v[180:183], a[104:105], v[248:249], v[180:183]// 00000000B384: D3F300B4 0ED3F168
	buffer_load_dwordx4 a[236:239], v42, s[92:95], 0 offen offset:3072// 00000000B38C: E05C1C00 8097EC2A
	v_mfma_f32_16x16x32_fp8_fp8 v[180:183], a[106:107], v[250:251], v[180:183]// 00000000B394: D3F300B4 0ED3F56A
	v_mfma_f32_16x16x32_fp8_fp8 v[180:183], a[108:109], v[252:253], v[180:183]// 00000000B39C: D3F300B4 0ED3F96C
	v_mfma_f32_16x16x32_fp8_fp8 v[180:183], a[110:111], v[254:255], v[180:183]// 00000000B3A4: D3F300B4 0ED3FD6E
	s_waitcnt vmcnt(45)                                        // 00000000B3AC: BF8C8F7D
	v_mfma_f32_16x16x32_fp8_fp8 v[184:187], a[112:113], v[224:225], v[184:187]// 00000000B3B0: D3F300B8 0EE3C170
	buffer_load_dwordx4 a[240:243], v43, s[92:95], 0 offen     // 00000000B3B8: E05C1000 8097F02B
	v_mfma_f32_16x16x32_fp8_fp8 v[184:187], a[114:115], v[226:227], v[184:187]// 00000000B3C0: D3F300B8 0EE3C572
	v_mfma_f32_16x16x32_fp8_fp8 v[184:187], a[116:117], v[228:229], v[184:187]// 00000000B3C8: D3F300B8 0EE3C974
	v_mfma_f32_16x16x32_fp8_fp8 v[184:187], a[118:119], v[230:231], v[184:187]// 00000000B3D0: D3F300B8 0EE3CD76
	v_mfma_f32_16x16x32_fp8_fp8 v[184:187], a[120:121], v[232:233], v[184:187]// 00000000B3D8: D3F300B8 0EE3D178
	buffer_load_dwordx4 a[244:247], v43, s[92:95], 0 offen offset:1024// 00000000B3E0: E05C1400 8097F42B
	v_mfma_f32_16x16x32_fp8_fp8 v[184:187], a[122:123], v[234:235], v[184:187]// 00000000B3E8: D3F300B8 0EE3D57A
	v_mfma_f32_16x16x32_fp8_fp8 v[184:187], a[124:125], v[236:237], v[184:187]// 00000000B3F0: D3F300B8 0EE3D97C
	v_mfma_f32_16x16x32_fp8_fp8 v[184:187], a[126:127], v[238:239], v[184:187]// 00000000B3F8: D3F300B8 0EE3DD7E
	v_mfma_f32_16x16x32_fp8_fp8 v[188:191], a[112:113], v[240:241], v[188:191]// 00000000B400: D3F300BC 0EF3E170
	buffer_load_dwordx4 a[248:251], v43, s[92:95], 0 offen offset:2048// 00000000B408: E05C1800 8097F82B
	v_mfma_f32_16x16x32_fp8_fp8 v[188:191], a[114:115], v[242:243], v[188:191]// 00000000B410: D3F300BC 0EF3E572
	v_mfma_f32_16x16x32_fp8_fp8 v[188:191], a[116:117], v[244:245], v[188:191]// 00000000B418: D3F300BC 0EF3E974
	v_mfma_f32_16x16x32_fp8_fp8 v[188:191], a[118:119], v[246:247], v[188:191]// 00000000B420: D3F300BC 0EF3ED76
	v_mfma_f32_16x16x32_fp8_fp8 v[188:191], a[120:121], v[248:249], v[188:191]// 00000000B428: D3F300BC 0EF3F178
	buffer_load_dwordx4 a[252:255], v43, s[92:95], 0 offen offset:3072// 00000000B430: E05C1C00 8097FC2B
	v_mfma_f32_16x16x32_fp8_fp8 v[188:191], a[122:123], v[250:251], v[188:191]// 00000000B438: D3F300BC 0EF3F57A
	v_mfma_f32_16x16x32_fp8_fp8 v[188:191], a[124:125], v[252:253], v[188:191]// 00000000B440: D3F300BC 0EF3F97C
	v_mfma_f32_16x16x32_fp8_fp8 v[188:191], a[126:127], v[254:255], v[188:191]// 00000000B448: D3F300BC 0EF3FD7E
	v_mov_b32_e32 v44, v26                                     // 00000000B450: 7E58031A
	v_mov_b32_e32 v46, v27                                     // 00000000B454: 7E5C031B
	v_mov_b32_e32 v45, v44                                     // 00000000B458: 7E5A032C
	v_mov_b32_e32 v47, v46                                     // 00000000B45C: 7E5E032E
	v_pk_mul_f32 v[128:129], v[44:45], v[128:129]              // 00000000B460: D3B14080 1803012C
	v_pk_mul_f32 v[130:131], v[44:45], v[130:131]              // 00000000B468: D3B14082 1803052C
	v_pk_mul_f32 v[132:133], v[46:47], v[132:133]              // 00000000B470: D3B14084 1803092E
	v_pk_mul_f32 v[134:135], v[46:47], v[134:135]              // 00000000B478: D3B14086 18030D2E
	v_pk_mul_f32 v[136:137], v[44:45], v[136:137]              // 00000000B480: D3B14088 1803112C
	v_pk_mul_f32 v[138:139], v[44:45], v[138:139]              // 00000000B488: D3B1408A 1803152C
	v_pk_mul_f32 v[140:141], v[46:47], v[140:141]              // 00000000B490: D3B1408C 1803192E
	v_pk_mul_f32 v[142:143], v[46:47], v[142:143]              // 00000000B498: D3B1408E 18031D2E
	v_pk_mul_f32 v[144:145], v[44:45], v[144:145]              // 00000000B4A0: D3B14090 1803212C
	v_pk_mul_f32 v[146:147], v[44:45], v[146:147]              // 00000000B4A8: D3B14092 1803252C
	v_pk_mul_f32 v[148:149], v[46:47], v[148:149]              // 00000000B4B0: D3B14094 1803292E
	v_pk_mul_f32 v[150:151], v[46:47], v[150:151]              // 00000000B4B8: D3B14096 18032D2E
	v_pk_mul_f32 v[152:153], v[44:45], v[152:153]              // 00000000B4C0: D3B14098 1803312C
	v_pk_mul_f32 v[154:155], v[44:45], v[154:155]              // 00000000B4C8: D3B1409A 1803352C
	v_pk_mul_f32 v[156:157], v[46:47], v[156:157]              // 00000000B4D0: D3B1409C 1803392E
	v_pk_mul_f32 v[158:159], v[46:47], v[158:159]              // 00000000B4D8: D3B1409E 18033D2E
	v_pk_mul_f32 v[160:161], v[44:45], v[160:161]              // 00000000B4E0: D3B140A0 1803412C
	v_pk_mul_f32 v[162:163], v[44:45], v[162:163]              // 00000000B4E8: D3B140A2 1803452C
	v_pk_mul_f32 v[164:165], v[46:47], v[164:165]              // 00000000B4F0: D3B140A4 1803492E
	v_pk_mul_f32 v[166:167], v[46:47], v[166:167]              // 00000000B4F8: D3B140A6 18034D2E
	v_pk_mul_f32 v[168:169], v[44:45], v[168:169]              // 00000000B500: D3B140A8 1803512C
	v_pk_mul_f32 v[170:171], v[44:45], v[170:171]              // 00000000B508: D3B140AA 1803552C
	v_pk_mul_f32 v[172:173], v[46:47], v[172:173]              // 00000000B510: D3B140AC 1803592E
	v_pk_mul_f32 v[174:175], v[46:47], v[174:175]              // 00000000B518: D3B140AE 18035D2E
	v_pk_mul_f32 v[176:177], v[44:45], v[176:177]              // 00000000B520: D3B140B0 1803612C
	v_pk_mul_f32 v[178:179], v[44:45], v[178:179]              // 00000000B528: D3B140B2 1803652C
	v_pk_mul_f32 v[180:181], v[46:47], v[180:181]              // 00000000B530: D3B140B4 1803692E
	v_pk_mul_f32 v[182:183], v[46:47], v[182:183]              // 00000000B538: D3B140B6 18036D2E
	v_pk_mul_f32 v[184:185], v[44:45], v[184:185]              // 00000000B540: D3B140B8 1803712C
	v_pk_mul_f32 v[186:187], v[44:45], v[186:187]              // 00000000B548: D3B140BA 1803752C
	v_pk_mul_f32 v[188:189], v[46:47], v[188:189]              // 00000000B550: D3B140BC 1803792E
	v_pk_mul_f32 v[190:191], v[46:47], v[190:191]              // 00000000B558: D3B140BE 18037D2E
	v_rcp_f32_e32 v44, v26                                     // 00000000B560: 7E58451A
	v_rcp_f32_e32 v46, v27                                     // 00000000B564: 7E5C451B
	v_mov_b32_e32 v45, v44                                     // 00000000B568: 7E5A032C
	v_mov_b32_e32 v47, v46                                     // 00000000B56C: 7E5E032E
	v_pk_mul_f32 v[64:65], v[44:45], v[64:65]                  // 00000000B570: D3B14040 1802812C
	v_pk_mul_f32 v[66:67], v[44:45], v[66:67]                  // 00000000B578: D3B14042 1802852C
	v_pk_mul_f32 v[68:69], v[46:47], v[68:69]                  // 00000000B580: D3B14044 1802892E
	v_pk_mul_f32 v[70:71], v[46:47], v[70:71]                  // 00000000B588: D3B14046 18028D2E
	v_pk_mul_f32 v[72:73], v[44:45], v[72:73]                  // 00000000B590: D3B14048 1802912C
	v_pk_mul_f32 v[74:75], v[44:45], v[74:75]                  // 00000000B598: D3B1404A 1802952C
	v_pk_mul_f32 v[76:77], v[46:47], v[76:77]                  // 00000000B5A0: D3B1404C 1802992E
	v_pk_mul_f32 v[78:79], v[46:47], v[78:79]                  // 00000000B5A8: D3B1404E 18029D2E
	v_pk_mul_f32 v[80:81], v[44:45], v[80:81]                  // 00000000B5B0: D3B14050 1802A12C
	v_pk_mul_f32 v[82:83], v[44:45], v[82:83]                  // 00000000B5B8: D3B14052 1802A52C
	v_pk_mul_f32 v[84:85], v[46:47], v[84:85]                  // 00000000B5C0: D3B14054 1802A92E
	v_pk_mul_f32 v[86:87], v[46:47], v[86:87]                  // 00000000B5C8: D3B14056 1802AD2E
	v_pk_mul_f32 v[88:89], v[44:45], v[88:89]                  // 00000000B5D0: D3B14058 1802B12C
	v_pk_mul_f32 v[90:91], v[44:45], v[90:91]                  // 00000000B5D8: D3B1405A 1802B52C
	v_pk_mul_f32 v[92:93], v[46:47], v[92:93]                  // 00000000B5E0: D3B1405C 1802B92E
	v_pk_mul_f32 v[94:95], v[46:47], v[94:95]                  // 00000000B5E8: D3B1405E 1802BD2E
	v_pk_mul_f32 v[96:97], v[44:45], v[96:97]                  // 00000000B5F0: D3B14060 1802C12C
	v_pk_mul_f32 v[98:99], v[44:45], v[98:99]                  // 00000000B5F8: D3B14062 1802C52C
	v_pk_mul_f32 v[100:101], v[46:47], v[100:101]              // 00000000B600: D3B14064 1802C92E
	v_pk_mul_f32 v[102:103], v[46:47], v[102:103]              // 00000000B608: D3B14066 1802CD2E
	v_pk_mul_f32 v[104:105], v[44:45], v[104:105]              // 00000000B610: D3B14068 1802D12C
	v_pk_mul_f32 v[106:107], v[44:45], v[106:107]              // 00000000B618: D3B1406A 1802D52C
	v_pk_mul_f32 v[108:109], v[46:47], v[108:109]              // 00000000B620: D3B1406C 1802D92E
	v_pk_mul_f32 v[110:111], v[46:47], v[110:111]              // 00000000B628: D3B1406E 1802DD2E
	v_pk_mul_f32 v[112:113], v[44:45], v[112:113]              // 00000000B630: D3B14070 1802E12C
	v_pk_mul_f32 v[114:115], v[44:45], v[114:115]              // 00000000B638: D3B14072 1802E52C
	v_pk_mul_f32 v[116:117], v[46:47], v[116:117]              // 00000000B640: D3B14074 1802E92E
	v_pk_mul_f32 v[118:119], v[46:47], v[118:119]              // 00000000B648: D3B14076 1802ED2E
	v_pk_mul_f32 v[120:121], v[44:45], v[120:121]              // 00000000B650: D3B14078 1802F12C
	v_pk_mul_f32 v[122:123], v[44:45], v[122:123]              // 00000000B658: D3B1407A 1802F52C
	v_pk_mul_f32 v[124:125], v[46:47], v[124:125]              // 00000000B660: D3B1407C 1802F92E
	v_pk_mul_f32 v[126:127], v[46:47], v[126:127]              // 00000000B668: D3B1407E 1802FD2E
	s_waitcnt vmcnt(24)                                        // 00000000B670: BF8C4F78
	s_barrier                                                  // 00000000B674: BF8A0000
	v_mfma_f32_16x16x32_fp8_fp8 v[64:67], a[128:129], v[224:225], v[64:67]// 00000000B678: D3F30040 0D03C180
	buffer_load_dwordx4 a[0:3], v36, s[24:27], 0 offen         // 00000000B680: E05C1000 80860024
	v_mfma_f32_16x16x32_fp8_fp8 v[64:67], a[130:131], v[226:227], v[64:67]// 00000000B688: D3F30040 0D03C582
	ds_read_b64 v[192:193], v2 offset:2048                     // 00000000B690: D8EC0800 C0000002
	ds_read_b64 v[196:197], v2 offset:10368                    // 00000000B698: D8EC2880 C4000002
	v_mfma_f32_16x16x32_fp8_fp8 v[64:67], a[132:133], v[228:229], v[64:67]// 00000000B6A0: D3F30040 0D03C984
	v_mfma_f32_16x16x32_fp8_fp8 v[64:67], a[134:135], v[230:231], v[64:67]// 00000000B6A8: D3F30040 0D03CD86
	ds_read_b64 v[200:201], v2 offset:2176                     // 00000000B6B0: D8EC0880 C8000002
	ds_read_b64 v[204:205], v2 offset:10496                    // 00000000B6B8: D8EC2900 CC000002
	v_mfma_f32_16x16x32_fp8_fp8 v[64:67], a[136:137], v[232:233], v[64:67]// 00000000B6C0: D3F30040 0D03D188
	buffer_load_dwordx4 a[4:7], v36, s[24:27], 0 offen offset:1024// 00000000B6C8: E05C1400 80860424
	v_mfma_f32_16x16x32_fp8_fp8 v[64:67], a[138:139], v[234:235], v[64:67]// 00000000B6D0: D3F30040 0D03D58A
	ds_read_b64 v[208:209], v2 offset:2304                     // 00000000B6D8: D8EC0900 D0000002
	ds_read_b64 v[212:213], v2 offset:10624                    // 00000000B6E0: D8EC2980 D4000002
	v_mfma_f32_16x16x32_fp8_fp8 v[64:67], a[140:141], v[236:237], v[64:67]// 00000000B6E8: D3F30040 0D03D98C
	v_mfma_f32_16x16x32_fp8_fp8 v[64:67], a[142:143], v[238:239], v[64:67]// 00000000B6F0: D3F30040 0D03DD8E
	ds_read_b64 v[216:217], v2 offset:2432                     // 00000000B6F8: D8EC0980 D8000002
	ds_read_b64 v[220:221], v2 offset:10752                    // 00000000B700: D8EC2A00 DC000002
	s_waitcnt lgkmcnt(4)                                       // 00000000B708: BF8CC47F
	v_and_b32_e32 v195, 0xffff0000, v193                       // 00000000B70C: 278782FF FFFF0000
	v_lshlrev_b32_e32 v194, 16, v193                           // 00000000B714: 25858290
	v_and_b32_e32 v193, 0xffff0000, v192                       // 00000000B718: 278380FF FFFF0000
	v_lshlrev_b32_e32 v192, 16, v192                           // 00000000B720: 25818090
	v_and_b32_e32 v199, 0xffff0000, v197                       // 00000000B724: 278F8AFF FFFF0000
	v_lshlrev_b32_e32 v198, 16, v197                           // 00000000B72C: 258D8A90
	v_and_b32_e32 v197, 0xffff0000, v196                       // 00000000B730: 278B88FF FFFF0000
	v_lshlrev_b32_e32 v196, 16, v196                           // 00000000B738: 25898890
	v_and_b32_e32 v203, 0xffff0000, v201                       // 00000000B73C: 279792FF FFFF0000
	v_lshlrev_b32_e32 v202, 16, v201                           // 00000000B744: 25959290
	v_and_b32_e32 v201, 0xffff0000, v200                       // 00000000B748: 279390FF FFFF0000
	v_lshlrev_b32_e32 v200, 16, v200                           // 00000000B750: 25919090
	v_and_b32_e32 v207, 0xffff0000, v205                       // 00000000B754: 279F9AFF FFFF0000
	v_lshlrev_b32_e32 v206, 16, v205                           // 00000000B75C: 259D9A90
	v_and_b32_e32 v205, 0xffff0000, v204                       // 00000000B760: 279B98FF FFFF0000
	v_lshlrev_b32_e32 v204, 16, v204                           // 00000000B768: 25999890
	v_mul_f32_dpp v192, v14, v192 row_newbcast:0 row_mask:0xf bank_mask:0xf// 00000000B76C: 0B8180FA FF01500E
	v_mul_f32_dpp v193, v14, v193 row_newbcast:1 row_mask:0xf bank_mask:0xf// 00000000B774: 0B8382FA FF01510E
	v_mul_f32_dpp v194, v14, v194 row_newbcast:2 row_mask:0xf bank_mask:0xf// 00000000B77C: 0B8584FA FF01520E
	v_mul_f32_dpp v195, v14, v195 row_newbcast:3 row_mask:0xf bank_mask:0xf// 00000000B784: 0B8786FA FF01530E
	v_mul_f32_dpp v196, v14, v196 row_newbcast:0 row_mask:0xf bank_mask:0xf// 00000000B78C: 0B8988FA FF01500E
	v_mul_f32_dpp v197, v14, v197 row_newbcast:1 row_mask:0xf bank_mask:0xf// 00000000B794: 0B8B8AFA FF01510E
	v_mul_f32_dpp v198, v14, v198 row_newbcast:2 row_mask:0xf bank_mask:0xf// 00000000B79C: 0B8D8CFA FF01520E
	v_mul_f32_dpp v199, v14, v199 row_newbcast:3 row_mask:0xf bank_mask:0xf// 00000000B7A4: 0B8F8EFA FF01530E
	v_mul_f32_dpp v200, v14, v200 row_newbcast:4 row_mask:0xf bank_mask:0xf// 00000000B7AC: 0B9190FA FF01540E
	v_mul_f32_dpp v201, v14, v201 row_newbcast:5 row_mask:0xf bank_mask:0xf// 00000000B7B4: 0B9392FA FF01550E
	v_mul_f32_dpp v202, v14, v202 row_newbcast:6 row_mask:0xf bank_mask:0xf// 00000000B7BC: 0B9594FA FF01560E
	v_mul_f32_dpp v203, v14, v203 row_newbcast:7 row_mask:0xf bank_mask:0xf// 00000000B7C4: 0B9796FA FF01570E
	v_mul_f32_dpp v204, v14, v204 row_newbcast:4 row_mask:0xf bank_mask:0xf// 00000000B7CC: 0B9998FA FF01540E
	v_mul_f32_dpp v205, v14, v205 row_newbcast:5 row_mask:0xf bank_mask:0xf// 00000000B7D4: 0B9B9AFA FF01550E
	v_mul_f32_dpp v206, v14, v206 row_newbcast:6 row_mask:0xf bank_mask:0xf// 00000000B7DC: 0B9D9CFA FF01560E
	v_mul_f32_dpp v207, v14, v207 row_newbcast:7 row_mask:0xf bank_mask:0xf// 00000000B7E4: 0B9F9EFA FF01570E
	v_mfma_f32_16x16x32_fp8_fp8 v[68:71], a[128:129], v[240:241], v[68:71]// 00000000B7EC: D3F30044 0D13E180
	buffer_load_dwordx4 a[8:11], v36, s[24:27], 0 offen offset:2048// 00000000B7F4: E05C1800 80860824
	v_mfma_f32_16x16x32_fp8_fp8 v[68:71], a[130:131], v[242:243], v[68:71]// 00000000B7FC: D3F30044 0D13E582
	v_mfma_f32_16x16x32_fp8_fp8 v[68:71], a[132:133], v[244:245], v[68:71]// 00000000B804: D3F30044 0D13E984
	v_mfma_f32_16x16x32_fp8_fp8 v[68:71], a[134:135], v[246:247], v[68:71]// 00000000B80C: D3F30044 0D13ED86
	v_mfma_f32_16x16x32_fp8_fp8 v[68:71], a[136:137], v[248:249], v[68:71]// 00000000B814: D3F30044 0D13F188
	buffer_load_dwordx4 a[12:15], v36, s[24:27], 0 offen offset:3072// 00000000B81C: E05C1C00 80860C24
	v_mfma_f32_16x16x32_fp8_fp8 v[68:71], a[138:139], v[250:251], v[68:71]// 00000000B824: D3F30044 0D13F58A
	v_mfma_f32_16x16x32_fp8_fp8 v[68:71], a[140:141], v[252:253], v[68:71]// 00000000B82C: D3F30044 0D13F98C
	v_mfma_f32_16x16x32_fp8_fp8 v[68:71], a[142:143], v[254:255], v[68:71]// 00000000B834: D3F30044 0D13FD8E
	s_waitcnt lgkmcnt(0)                                       // 00000000B83C: BF8CC07F
	v_and_b32_e32 v211, 0xffff0000, v209                       // 00000000B840: 27A7A2FF FFFF0000
	v_lshlrev_b32_e32 v210, 16, v209                           // 00000000B848: 25A5A290
	v_and_b32_e32 v209, 0xffff0000, v208                       // 00000000B84C: 27A3A0FF FFFF0000
	v_lshlrev_b32_e32 v208, 16, v208                           // 00000000B854: 25A1A090
	v_and_b32_e32 v215, 0xffff0000, v213                       // 00000000B858: 27AFAAFF FFFF0000
	v_lshlrev_b32_e32 v214, 16, v213                           // 00000000B860: 25ADAA90
	v_and_b32_e32 v213, 0xffff0000, v212                       // 00000000B864: 27ABA8FF FFFF0000
	v_lshlrev_b32_e32 v212, 16, v212                           // 00000000B86C: 25A9A890
	v_and_b32_e32 v219, 0xffff0000, v217                       // 00000000B870: 27B7B2FF FFFF0000
	v_lshlrev_b32_e32 v218, 16, v217                           // 00000000B878: 25B5B290
	v_and_b32_e32 v217, 0xffff0000, v216                       // 00000000B87C: 27B3B0FF FFFF0000
	v_lshlrev_b32_e32 v216, 16, v216                           // 00000000B884: 25B1B090
	v_and_b32_e32 v223, 0xffff0000, v221                       // 00000000B888: 27BFBAFF FFFF0000
	v_lshlrev_b32_e32 v222, 16, v221                           // 00000000B890: 25BDBA90
	v_and_b32_e32 v221, 0xffff0000, v220                       // 00000000B894: 27BBB8FF FFFF0000
	v_lshlrev_b32_e32 v220, 16, v220                           // 00000000B89C: 25B9B890
	v_mul_f32_dpp v208, v14, v208 row_newbcast:8 row_mask:0xf bank_mask:0xf// 00000000B8A0: 0BA1A0FA FF01580E
	v_mul_f32_dpp v209, v14, v209 row_newbcast:9 row_mask:0xf bank_mask:0xf// 00000000B8A8: 0BA3A2FA FF01590E
	v_mul_f32_dpp v210, v14, v210 row_newbcast:10 row_mask:0xf bank_mask:0xf// 00000000B8B0: 0BA5A4FA FF015A0E
	v_mul_f32_dpp v211, v14, v211 row_newbcast:11 row_mask:0xf bank_mask:0xf// 00000000B8B8: 0BA7A6FA FF015B0E
	v_mul_f32_dpp v212, v14, v212 row_newbcast:8 row_mask:0xf bank_mask:0xf// 00000000B8C0: 0BA9A8FA FF01580E
	v_mul_f32_dpp v213, v14, v213 row_newbcast:9 row_mask:0xf bank_mask:0xf// 00000000B8C8: 0BABAAFA FF01590E
	v_mul_f32_dpp v214, v14, v214 row_newbcast:10 row_mask:0xf bank_mask:0xf// 00000000B8D0: 0BADACFA FF015A0E
	v_mul_f32_dpp v215, v14, v215 row_newbcast:11 row_mask:0xf bank_mask:0xf// 00000000B8D8: 0BAFAEFA FF015B0E
	v_mul_f32_dpp v216, v14, v216 row_newbcast:12 row_mask:0xf bank_mask:0xf// 00000000B8E0: 0BB1B0FA FF015C0E
	v_mul_f32_dpp v217, v14, v217 row_newbcast:13 row_mask:0xf bank_mask:0xf// 00000000B8E8: 0BB3B2FA FF015D0E
	v_mul_f32_dpp v218, v14, v218 row_newbcast:14 row_mask:0xf bank_mask:0xf// 00000000B8F0: 0BB5B4FA FF015E0E
	v_mul_f32_dpp v219, v14, v219 row_newbcast:15 row_mask:0xf bank_mask:0xf// 00000000B8F8: 0BB7B6FA FF015F0E
	v_mul_f32_dpp v220, v14, v220 row_newbcast:12 row_mask:0xf bank_mask:0xf// 00000000B900: 0BB9B8FA FF015C0E
	v_mul_f32_dpp v221, v14, v221 row_newbcast:13 row_mask:0xf bank_mask:0xf// 00000000B908: 0BBBBAFA FF015D0E
	v_mul_f32_dpp v222, v14, v222 row_newbcast:14 row_mask:0xf bank_mask:0xf// 00000000B910: 0BBDBCFA FF015E0E
	v_mul_f32_dpp v223, v14, v223 row_newbcast:15 row_mask:0xf bank_mask:0xf// 00000000B918: 0BBFBEFA FF015F0E
	v_mfma_f32_16x16x32_fp8_fp8 v[72:75], a[144:145], v[224:225], v[72:75]// 00000000B920: D3F30048 0D23C190
	buffer_load_dwordx4 a[16:19], v37, s[24:27], 0 offen       // 00000000B928: E05C1000 80861025
	v_mfma_f32_16x16x32_fp8_fp8 v[72:75], a[146:147], v[226:227], v[72:75]// 00000000B930: D3F30048 0D23C592
	v_mfma_f32_16x16x32_fp8_fp8 v[72:75], a[148:149], v[228:229], v[72:75]// 00000000B938: D3F30048 0D23C994
	v_mfma_f32_16x16x32_fp8_fp8 v[72:75], a[150:151], v[230:231], v[72:75]// 00000000B940: D3F30048 0D23CD96
	v_mfma_f32_16x16x32_fp8_fp8 v[72:75], a[152:153], v[232:233], v[72:75]// 00000000B948: D3F30048 0D23D198
	buffer_load_dwordx4 a[20:23], v37, s[24:27], 0 offen offset:1024// 00000000B950: E05C1400 80861425
	v_mfma_f32_16x16x32_fp8_fp8 v[72:75], a[154:155], v[234:235], v[72:75]// 00000000B958: D3F30048 0D23D59A
	v_mfma_f32_16x16x32_fp8_fp8 v[72:75], a[156:157], v[236:237], v[72:75]// 00000000B960: D3F30048 0D23D99C
	v_mfma_f32_16x16x32_fp8_fp8 v[72:75], a[158:159], v[238:239], v[72:75]// 00000000B968: D3F30048 0D23DD9E
	v_mov_b32_e32 v48, 0x358637bd                              // 00000000B970: 7E6002FF 358637BD
	v_mov_b32_e32 v49, 0x358637bd                              // 00000000B978: 7E6202FF 358637BD
	v_max3_f32 v48, |v192|, |v193|, v48                        // 00000000B980: D1D30330 04C383C0
	v_max3_f32 v48, |v194|, |v195|, v48                        // 00000000B988: D1D30330 04C387C2
	v_max3_f32 v49, |v196|, |v197|, v49                        // 00000000B990: D1D30331 04C78BC4
	v_max3_f32 v49, |v198|, |v199|, v49                        // 00000000B998: D1D30331 04C78FC6
	v_max3_f32 v48, |v200|, |v201|, v48                        // 00000000B9A0: D1D30330 04C393C8
	v_max3_f32 v48, |v202|, |v203|, v48                        // 00000000B9A8: D1D30330 04C397CA
	v_max3_f32 v49, |v204|, |v205|, v49                        // 00000000B9B0: D1D30331 04C79BCC
	v_max3_f32 v49, |v206|, |v207|, v49                        // 00000000B9B8: D1D30331 04C79FCE
	v_max3_f32 v48, |v208|, |v209|, v48                        // 00000000B9C0: D1D30330 04C3A3D0
	v_max3_f32 v48, |v210|, |v211|, v48                        // 00000000B9C8: D1D30330 04C3A7D2
	v_max3_f32 v49, |v212|, |v213|, v49                        // 00000000B9D0: D1D30331 04C7ABD4
	v_max3_f32 v49, |v214|, |v215|, v49                        // 00000000B9D8: D1D30331 04C7AFD6
	v_max3_f32 v48, |v216|, |v217|, v48                        // 00000000B9E0: D1D30330 04C3B3D8
	v_max3_f32 v48, |v218|, |v219|, v48                        // 00000000B9E8: D1D30330 04C3B7DA
	v_max3_f32 v49, |v220|, |v221|, v49                        // 00000000B9F0: D1D30331 04C7BBDC
	v_max3_f32 v49, |v222|, |v223|, v49                        // 00000000B9F8: D1D30331 04C7BFDE
	v_mfma_f32_16x16x32_fp8_fp8 v[76:79], a[144:145], v[240:241], v[76:79]// 00000000BA00: D3F3004C 0D33E190
	buffer_load_dwordx4 a[24:27], v37, s[24:27], 0 offen offset:2048// 00000000BA08: E05C1800 80861825
	v_mfma_f32_16x16x32_fp8_fp8 v[76:79], a[146:147], v[242:243], v[76:79]// 00000000BA10: D3F3004C 0D33E592
	ds_write_b64 v3, v[48:49]                                  // 00000000BA18: D89A0000 00003003
	v_mfma_f32_16x16x32_fp8_fp8 v[76:79], a[148:149], v[244:245], v[76:79]// 00000000BA20: D3F3004C 0D33E994
	v_mfma_f32_16x16x32_fp8_fp8 v[76:79], a[150:151], v[246:247], v[76:79]// 00000000BA28: D3F3004C 0D33ED96
	v_mfma_f32_16x16x32_fp8_fp8 v[76:79], a[152:153], v[248:249], v[76:79]// 00000000BA30: D3F3004C 0D33F198
	buffer_load_dwordx4 a[28:31], v37, s[24:27], 0 offen offset:3072// 00000000BA38: E05C1C00 80861C25
	v_mfma_f32_16x16x32_fp8_fp8 v[76:79], a[154:155], v[250:251], v[76:79]// 00000000BA40: D3F3004C 0D33F59A
	v_mfma_f32_16x16x32_fp8_fp8 v[76:79], a[156:157], v[252:253], v[76:79]// 00000000BA48: D3F3004C 0D33F99C
	v_mfma_f32_16x16x32_fp8_fp8 v[76:79], a[158:159], v[254:255], v[76:79]// 00000000BA50: D3F3004C 0D33FD9E
	s_waitcnt lgkmcnt(0)                                       // 00000000BA58: BF8CC07F
	s_barrier                                                  // 00000000BA5C: BF8A0000
	s_waitcnt vmcnt(28)                                        // 00000000BA60: BF8C4F7C
	v_mfma_f32_16x16x32_fp8_fp8 v[80:83], a[160:161], v[224:225], v[80:83]// 00000000BA64: D3F30050 0D43C1A0
	buffer_load_dwordx4 a[32:35], v38, s[24:27], 0 offen       // 00000000BA6C: E05C1000 80862026
	v_mfma_f32_16x16x32_fp8_fp8 v[80:83], a[162:163], v[226:227], v[80:83]// 00000000BA74: D3F30050 0D43C5A2
	ds_read_b64 v[48:49], v4                                   // 00000000BA7C: D8EC0000 30000004
	ds_read_b64 v[50:51], v4 offset:128                        // 00000000BA84: D8EC0080 32000004
	v_mfma_f32_16x16x32_fp8_fp8 v[80:83], a[164:165], v[228:229], v[80:83]// 00000000BA8C: D3F30050 0D43C9A4
	v_mfma_f32_16x16x32_fp8_fp8 v[80:83], a[166:167], v[230:231], v[80:83]// 00000000BA94: D3F30050 0D43CDA6
	ds_read_b64 v[52:53], v4 offset:256                        // 00000000BA9C: D8EC0100 34000004
	ds_read_b64 v[54:55], v4 offset:384                        // 00000000BAA4: D8EC0180 36000004
	v_mfma_f32_16x16x32_fp8_fp8 v[80:83], a[168:169], v[232:233], v[80:83]// 00000000BAAC: D3F30050 0D43D1A8
	buffer_load_dwordx4 a[36:39], v38, s[24:27], 0 offen offset:1024// 00000000BAB4: E05C1400 80862426
	v_mfma_f32_16x16x32_fp8_fp8 v[80:83], a[170:171], v[234:235], v[80:83]// 00000000BABC: D3F30050 0D43D5AA
	ds_read_b64 v[56:57], v4 offset:512                        // 00000000BAC4: D8EC0200 38000004
	ds_read_b64 v[58:59], v4 offset:640                        // 00000000BACC: D8EC0280 3A000004
	v_mfma_f32_16x16x32_fp8_fp8 v[80:83], a[172:173], v[236:237], v[80:83]// 00000000BAD4: D3F30050 0D43D9AC
	v_mfma_f32_16x16x32_fp8_fp8 v[80:83], a[174:175], v[238:239], v[80:83]// 00000000BADC: D3F30050 0D43DDAE
	ds_read_b64 v[60:61], v4 offset:768                        // 00000000BAE4: D8EC0300 3C000004
	ds_read_b64 v[62:63], v4 offset:896                        // 00000000BAEC: D8EC0380 3E000004
	s_waitcnt lgkmcnt(0)                                       // 00000000BAF4: BF8CC07F
	v_mov_b32_e32 v22, 0x358637bd                              // 00000000BAF8: 7E2C02FF 358637BD
	v_mov_b32_e32 v23, 0x358637bd                              // 00000000BB00: 7E2E02FF 358637BD
	v_max3_f32 v22, |v48|, |v50|, v22                          // 00000000BB08: D1D30316 045A6530
	v_max3_f32 v23, |v49|, |v51|, v23                          // 00000000BB10: D1D30317 045E6731
	v_max3_f32 v22, |v52|, |v54|, v22                          // 00000000BB18: D1D30316 045A6D34
	v_max3_f32 v23, |v53|, |v55|, v23                          // 00000000BB20: D1D30317 045E6F35
	v_max3_f32 v22, |v56|, |v58|, v22                          // 00000000BB28: D1D30316 045A7538
	v_max3_f32 v23, |v57|, |v59|, v23                          // 00000000BB30: D1D30317 045E7739
	v_max3_f32 v22, |v60|, |v62|, v22                          // 00000000BB38: D1D30316 045A7D3C
	v_max3_f32 v23, |v61|, |v63|, v23                          // 00000000BB40: D1D30317 045E7F3D
	v_mfma_f32_16x16x32_fp8_fp8 v[84:87], a[160:161], v[240:241], v[84:87]// 00000000BB48: D3F30054 0D53E1A0
	buffer_load_dwordx4 a[40:43], v38, s[24:27], 0 offen offset:2048// 00000000BB50: E05C1800 80862826
	v_mfma_f32_16x16x32_fp8_fp8 v[84:87], a[162:163], v[242:243], v[84:87]// 00000000BB58: D3F30054 0D53E5A2
	ds_read_b64 v[48:49], v4 offset:1024                       // 00000000BB60: D8EC0400 30000004
	ds_read_b64 v[50:51], v4 offset:1152                       // 00000000BB68: D8EC0480 32000004
	v_mfma_f32_16x16x32_fp8_fp8 v[84:87], a[164:165], v[244:245], v[84:87]// 00000000BB70: D3F30054 0D53E9A4
	v_mfma_f32_16x16x32_fp8_fp8 v[84:87], a[166:167], v[246:247], v[84:87]// 00000000BB78: D3F30054 0D53EDA6
	ds_read_b64 v[52:53], v4 offset:1280                       // 00000000BB80: D8EC0500 34000004
	ds_read_b64 v[54:55], v4 offset:1408                       // 00000000BB88: D8EC0580 36000004
	v_mfma_f32_16x16x32_fp8_fp8 v[84:87], a[168:169], v[248:249], v[84:87]// 00000000BB90: D3F30054 0D53F1A8
	buffer_load_dwordx4 a[44:47], v38, s[24:27], 0 offen offset:3072// 00000000BB98: E05C1C00 80862C26
	v_mfma_f32_16x16x32_fp8_fp8 v[84:87], a[170:171], v[250:251], v[84:87]// 00000000BBA0: D3F30054 0D53F5AA
	ds_read_b64 v[56:57], v4 offset:1536                       // 00000000BBA8: D8EC0600 38000004
	ds_read_b64 v[58:59], v4 offset:1664                       // 00000000BBB0: D8EC0680 3A000004
	v_mfma_f32_16x16x32_fp8_fp8 v[84:87], a[172:173], v[252:253], v[84:87]// 00000000BBB8: D3F30054 0D53F9AC
	v_mfma_f32_16x16x32_fp8_fp8 v[84:87], a[174:175], v[254:255], v[84:87]// 00000000BBC0: D3F30054 0D53FDAE
	ds_read_b64 v[60:61], v4 offset:1792                       // 00000000BBC8: D8EC0700 3C000004
	ds_read_b64 v[62:63], v4 offset:1920                       // 00000000BBD0: D8EC0780 3E000004
	s_waitcnt vmcnt(28)                                        // 00000000BBD8: BF8C4F7C
	v_mfma_f32_16x16x32_fp8_fp8 v[88:91], a[176:177], v[224:225], v[88:91]// 00000000BBDC: D3F30058 0D63C1B0
	buffer_load_dwordx4 a[48:51], v39, s[24:27], 0 offen       // 00000000BBE4: E05C1000 80863027
	v_mfma_f32_16x16x32_fp8_fp8 v[88:91], a[178:179], v[226:227], v[88:91]// 00000000BBEC: D3F30058 0D63C5B2
	v_mfma_f32_16x16x32_fp8_fp8 v[88:91], a[180:181], v[228:229], v[88:91]// 00000000BBF4: D3F30058 0D63C9B4
	v_mfma_f32_16x16x32_fp8_fp8 v[88:91], a[182:183], v[230:231], v[88:91]// 00000000BBFC: D3F30058 0D63CDB6
	v_mfma_f32_16x16x32_fp8_fp8 v[88:91], a[184:185], v[232:233], v[88:91]// 00000000BC04: D3F30058 0D63D1B8
	buffer_load_dwordx4 a[52:55], v39, s[24:27], 0 offen offset:1024// 00000000BC0C: E05C1400 80863427
	v_mfma_f32_16x16x32_fp8_fp8 v[88:91], a[186:187], v[234:235], v[88:91]// 00000000BC14: D3F30058 0D63D5BA
	v_mfma_f32_16x16x32_fp8_fp8 v[88:91], a[188:189], v[236:237], v[88:91]// 00000000BC1C: D3F30058 0D63D9BC
	v_mfma_f32_16x16x32_fp8_fp8 v[88:91], a[190:191], v[238:239], v[88:91]// 00000000BC24: D3F30058 0D63DDBE
	s_waitcnt lgkmcnt(0)                                       // 00000000BC2C: BF8CC07F
	v_max3_f32 v22, |v48|, |v50|, v22                          // 00000000BC30: D1D30316 045A6530
	v_max3_f32 v23, |v49|, |v51|, v23                          // 00000000BC38: D1D30317 045E6731
	v_max3_f32 v22, |v52|, |v54|, v22                          // 00000000BC40: D1D30316 045A6D34
	v_max3_f32 v23, |v53|, |v55|, v23                          // 00000000BC48: D1D30317 045E6F35
	v_max3_f32 v22, |v56|, |v58|, v22                          // 00000000BC50: D1D30316 045A7538
	v_max3_f32 v23, |v57|, |v59|, v23                          // 00000000BC58: D1D30317 045E7739
	v_max3_f32 v22, |v60|, |v62|, v22                          // 00000000BC60: D1D30316 045A7D3C
	v_max3_f32 v23, |v61|, |v63|, v23                          // 00000000BC68: D1D30317 045E7F3D
	v_mov_b32_e32 v44, 0x43700000                              // 00000000BC70: 7E5802FF 43700000
	v_rcp_f32_e32 v22, v22                                     // 00000000BC78: 7E2C4516
	v_rcp_f32_e32 v23, v23                                     // 00000000BC7C: 7E2E4517
	s_nop 1                                                    // 00000000BC80: BF800001
	v_mul_f32_e32 v22, v44, v22                                // 00000000BC84: 0A2C2D2C
	v_mul_f32_e32 v23, v44, v23                                // 00000000BC88: 0A2E2F2C
	v_rcp_f32_e32 v24, v22                                     // 00000000BC8C: 7E304516
	v_rcp_f32_e32 v25, v23                                     // 00000000BC90: 7E324517
	v_mov_b32_e32 v44, v22                                     // 00000000BC94: 7E580316
	v_mov_b32_e32 v45, v22                                     // 00000000BC98: 7E5A0316
	v_mov_b32_e32 v46, v23                                     // 00000000BC9C: 7E5C0317
	v_mov_b32_e32 v47, v23                                     // 00000000BCA0: 7E5E0317
	v_mfma_f32_16x16x32_fp8_fp8 v[92:95], a[176:177], v[240:241], v[92:95]// 00000000BCA4: D3F3005C 0D73E1B0
	buffer_load_dwordx4 a[56:59], v39, s[24:27], 0 offen offset:2048// 00000000BCAC: E05C1800 80863827
	v_mfma_f32_16x16x32_fp8_fp8 v[92:95], a[178:179], v[242:243], v[92:95]// 00000000BCB4: D3F3005C 0D73E5B2
	v_mfma_f32_16x16x32_fp8_fp8 v[92:95], a[180:181], v[244:245], v[92:95]// 00000000BCBC: D3F3005C 0D73E9B4
	v_mfma_f32_16x16x32_fp8_fp8 v[92:95], a[182:183], v[246:247], v[92:95]// 00000000BCC4: D3F3005C 0D73EDB6
	v_mfma_f32_16x16x32_fp8_fp8 v[92:95], a[184:185], v[248:249], v[92:95]// 00000000BCCC: D3F3005C 0D73F1B8
	buffer_load_dwordx4 a[60:63], v39, s[24:27], 0 offen offset:3072// 00000000BCD4: E05C1C00 80863C27
	v_mfma_f32_16x16x32_fp8_fp8 v[92:95], a[186:187], v[250:251], v[92:95]// 00000000BCDC: D3F3005C 0D73F5BA
	v_mfma_f32_16x16x32_fp8_fp8 v[92:95], a[188:189], v[252:253], v[92:95]// 00000000BCE4: D3F3005C 0D73F9BC
	v_mfma_f32_16x16x32_fp8_fp8 v[92:95], a[190:191], v[254:255], v[92:95]// 00000000BCEC: D3F3005C 0D73FDBE
	v_pk_mul_f32 v[192:193], v[44:45], v[192:193]              // 00000000BCF4: D3B140C0 1803812C
	v_pk_mul_f32 v[194:195], v[44:45], v[194:195]              // 00000000BCFC: D3B140C2 1803852C
	v_cvt_pk_fp8_f32 v192, v192, v193                          // 00000000BD04: D2A200C0 000383C0
	v_cvt_pk_fp8_f32 v192, v194, v195 op_sel:[0,0,1]           // 00000000BD0C: D2A240C0 000387C2
	v_pk_mul_f32 v[196:197], v[46:47], v[196:197]              // 00000000BD14: D3B140C4 1803892E
	v_pk_mul_f32 v[198:199], v[46:47], v[198:199]              // 00000000BD1C: D3B140C6 18038D2E
	v_cvt_pk_fp8_f32 v193, v196, v197                          // 00000000BD24: D2A200C1 00038BC4
	v_cvt_pk_fp8_f32 v193, v198, v199 op_sel:[0,0,1]           // 00000000BD2C: D2A240C1 00038FC6
	s_waitcnt vmcnt(28)                                        // 00000000BD34: BF8C4F7C
	v_mfma_f32_16x16x32_fp8_fp8 v[96:99], a[192:193], v[224:225], v[96:99]// 00000000BD38: D3F30060 0D83C1C0
	buffer_load_dwordx4 a[64:67], v40, s[24:27], 0 offen       // 00000000BD40: E05C1000 80864028
	v_mfma_f32_16x16x32_fp8_fp8 v[96:99], a[194:195], v[226:227], v[96:99]// 00000000BD48: D3F30060 0D83C5C2
	v_mfma_f32_16x16x32_fp8_fp8 v[96:99], a[196:197], v[228:229], v[96:99]// 00000000BD50: D3F30060 0D83C9C4
	v_mfma_f32_16x16x32_fp8_fp8 v[96:99], a[198:199], v[230:231], v[96:99]// 00000000BD58: D3F30060 0D83CDC6
	v_mfma_f32_16x16x32_fp8_fp8 v[96:99], a[200:201], v[232:233], v[96:99]// 00000000BD60: D3F30060 0D83D1C8
	buffer_load_dwordx4 a[68:71], v40, s[24:27], 0 offen offset:1024// 00000000BD68: E05C1400 80864428
	v_mfma_f32_16x16x32_fp8_fp8 v[96:99], a[202:203], v[234:235], v[96:99]// 00000000BD70: D3F30060 0D83D5CA
	v_mfma_f32_16x16x32_fp8_fp8 v[96:99], a[204:205], v[236:237], v[96:99]// 00000000BD78: D3F30060 0D83D9CC
	v_mfma_f32_16x16x32_fp8_fp8 v[96:99], a[206:207], v[238:239], v[96:99]// 00000000BD80: D3F30060 0D83DDCE
	v_pk_mul_f32 v[200:201], v[44:45], v[200:201]              // 00000000BD88: D3B140C8 1803912C
	v_pk_mul_f32 v[202:203], v[44:45], v[202:203]              // 00000000BD90: D3B140CA 1803952C
	v_cvt_pk_fp8_f32 v194, v200, v201                          // 00000000BD98: D2A200C2 000393C8
	v_cvt_pk_fp8_f32 v194, v202, v203 op_sel:[0,0,1]           // 00000000BDA0: D2A240C2 000397CA
	v_pk_mul_f32 v[204:205], v[46:47], v[204:205]              // 00000000BDA8: D3B140CC 1803992E
	v_pk_mul_f32 v[206:207], v[46:47], v[206:207]              // 00000000BDB0: D3B140CE 18039D2E
	v_cvt_pk_fp8_f32 v195, v204, v205                          // 00000000BDB8: D2A200C3 00039BCC
	v_cvt_pk_fp8_f32 v195, v206, v207 op_sel:[0,0,1]           // 00000000BDC0: D2A240C3 00039FCE
	v_mfma_f32_16x16x32_fp8_fp8 v[100:103], a[192:193], v[240:241], v[100:103]// 00000000BDC8: D3F30064 0D93E1C0
	buffer_load_dwordx4 a[72:75], v40, s[24:27], 0 offen offset:2048// 00000000BDD0: E05C1800 80864828
	v_mfma_f32_16x16x32_fp8_fp8 v[100:103], a[194:195], v[242:243], v[100:103]// 00000000BDD8: D3F30064 0D93E5C2
	ds_write_b32 v12, v192 offset:2048                         // 00000000BDE0: D81A0800 0000C00C
	v_mfma_f32_16x16x32_fp8_fp8 v[100:103], a[196:197], v[244:245], v[100:103]// 00000000BDE8: D3F30064 0D93E9C4
	v_mfma_f32_16x16x32_fp8_fp8 v[100:103], a[198:199], v[246:247], v[100:103]// 00000000BDF0: D3F30064 0D93EDC6
	ds_write_b32 v12, v193 offset:6144                         // 00000000BDF8: D81A1800 0000C10C
	v_mfma_f32_16x16x32_fp8_fp8 v[100:103], a[200:201], v[248:249], v[100:103]// 00000000BE00: D3F30064 0D93F1C8
	buffer_load_dwordx4 a[76:79], v40, s[24:27], 0 offen offset:3072// 00000000BE08: E05C1C00 80864C28
	v_mfma_f32_16x16x32_fp8_fp8 v[100:103], a[202:203], v[250:251], v[100:103]// 00000000BE10: D3F30064 0D93F5CA
	ds_write_b32 v12, v194 offset:3072                         // 00000000BE18: D81A0C00 0000C20C
	v_mfma_f32_16x16x32_fp8_fp8 v[100:103], a[204:205], v[252:253], v[100:103]// 00000000BE20: D3F30064 0D93F9CC
	v_mfma_f32_16x16x32_fp8_fp8 v[100:103], a[206:207], v[254:255], v[100:103]// 00000000BE28: D3F30064 0D93FDCE
	ds_write_b32 v12, v195 offset:7168                         // 00000000BE30: D81A1C00 0000C30C
	v_pk_mul_f32 v[208:209], v[44:45], v[208:209]              // 00000000BE38: D3B140D0 1803A12C
	v_pk_mul_f32 v[210:211], v[44:45], v[210:211]              // 00000000BE40: D3B140D2 1803A52C
	v_cvt_pk_fp8_f32 v196, v208, v209                          // 00000000BE48: D2A200C4 0003A3D0
	v_cvt_pk_fp8_f32 v196, v210, v211 op_sel:[0,0,1]           // 00000000BE50: D2A240C4 0003A7D2
	v_pk_mul_f32 v[212:213], v[46:47], v[212:213]              // 00000000BE58: D3B140D4 1803A92E
	v_pk_mul_f32 v[214:215], v[46:47], v[214:215]              // 00000000BE60: D3B140D6 1803AD2E
	v_cvt_pk_fp8_f32 v197, v212, v213                          // 00000000BE68: D2A200C5 0003ABD4
	v_cvt_pk_fp8_f32 v197, v214, v215 op_sel:[0,0,1]           // 00000000BE70: D2A240C5 0003AFD6
	s_waitcnt vmcnt(28)                                        // 00000000BE78: BF8C4F7C
	v_mfma_f32_16x16x32_fp8_fp8 v[104:107], a[208:209], v[224:225], v[104:107]// 00000000BE7C: D3F30068 0DA3C1D0
	buffer_load_dwordx4 a[80:83], v41, s[24:27], 0 offen       // 00000000BE84: E05C1000 80865029
	v_mfma_f32_16x16x32_fp8_fp8 v[104:107], a[210:211], v[226:227], v[104:107]// 00000000BE8C: D3F30068 0DA3C5D2
	v_mfma_f32_16x16x32_fp8_fp8 v[104:107], a[212:213], v[228:229], v[104:107]// 00000000BE94: D3F30068 0DA3C9D4
	v_mfma_f32_16x16x32_fp8_fp8 v[104:107], a[214:215], v[230:231], v[104:107]// 00000000BE9C: D3F30068 0DA3CDD6
	v_mfma_f32_16x16x32_fp8_fp8 v[104:107], a[216:217], v[232:233], v[104:107]// 00000000BEA4: D3F30068 0DA3D1D8
	buffer_load_dwordx4 a[84:87], v41, s[24:27], 0 offen offset:1024// 00000000BEAC: E05C1400 80865429
	v_mfma_f32_16x16x32_fp8_fp8 v[104:107], a[218:219], v[234:235], v[104:107]// 00000000BEB4: D3F30068 0DA3D5DA
	v_mfma_f32_16x16x32_fp8_fp8 v[104:107], a[220:221], v[236:237], v[104:107]// 00000000BEBC: D3F30068 0DA3D9DC
	v_mfma_f32_16x16x32_fp8_fp8 v[104:107], a[222:223], v[238:239], v[104:107]// 00000000BEC4: D3F30068 0DA3DDDE
	v_pk_mul_f32 v[216:217], v[44:45], v[216:217]              // 00000000BECC: D3B140D8 1803B12C
	v_pk_mul_f32 v[218:219], v[44:45], v[218:219]              // 00000000BED4: D3B140DA 1803B52C
	v_cvt_pk_fp8_f32 v198, v216, v217                          // 00000000BEDC: D2A200C6 0003B3D8
	v_cvt_pk_fp8_f32 v198, v218, v219 op_sel:[0,0,1]           // 00000000BEE4: D2A240C6 0003B7DA
	v_pk_mul_f32 v[220:221], v[46:47], v[220:221]              // 00000000BEEC: D3B140DC 1803B92E
	v_pk_mul_f32 v[222:223], v[46:47], v[222:223]              // 00000000BEF4: D3B140DE 1803BD2E
	v_cvt_pk_fp8_f32 v199, v220, v221                          // 00000000BEFC: D2A200C7 0003BBDC
	v_cvt_pk_fp8_f32 v199, v222, v223 op_sel:[0,0,1]           // 00000000BF04: D2A240C7 0003BFDE
	v_mfma_f32_16x16x32_fp8_fp8 v[108:111], a[208:209], v[240:241], v[108:111]// 00000000BF0C: D3F3006C 0DB3E1D0
	buffer_load_dwordx4 a[88:91], v41, s[24:27], 0 offen offset:2048// 00000000BF14: E05C1800 80865829
	v_mfma_f32_16x16x32_fp8_fp8 v[108:111], a[210:211], v[242:243], v[108:111]// 00000000BF1C: D3F3006C 0DB3E5D2
	ds_write_b32 v12, v196 offset:4096                         // 00000000BF24: D81A1000 0000C40C
	v_mfma_f32_16x16x32_fp8_fp8 v[108:111], a[212:213], v[244:245], v[108:111]// 00000000BF2C: D3F3006C 0DB3E9D4
	v_mfma_f32_16x16x32_fp8_fp8 v[108:111], a[214:215], v[246:247], v[108:111]// 00000000BF34: D3F3006C 0DB3EDD6
	ds_write_b32 v12, v197 offset:8192                         // 00000000BF3C: D81A2000 0000C50C
	v_mfma_f32_16x16x32_fp8_fp8 v[108:111], a[216:217], v[248:249], v[108:111]// 00000000BF44: D3F3006C 0DB3F1D8
	buffer_load_dwordx4 a[92:95], v41, s[24:27], 0 offen offset:3072// 00000000BF4C: E05C1C00 80865C29
	v_mfma_f32_16x16x32_fp8_fp8 v[108:111], a[218:219], v[250:251], v[108:111]// 00000000BF54: D3F3006C 0DB3F5DA
	ds_write_b32 v12, v198 offset:5120                         // 00000000BF5C: D81A1400 0000C60C
	v_mfma_f32_16x16x32_fp8_fp8 v[108:111], a[220:221], v[252:253], v[108:111]// 00000000BF64: D3F3006C 0DB3F9DC
	v_mfma_f32_16x16x32_fp8_fp8 v[108:111], a[222:223], v[254:255], v[108:111]// 00000000BF6C: D3F3006C 0DB3FDDE
	ds_write_b32 v12, v199 offset:9216                         // 00000000BF74: D81A2400 0000C70C
	s_waitcnt lgkmcnt(0)                                       // 00000000BF7C: BF8CC07F
	s_barrier                                                  // 00000000BF80: BF8A0000
	s_waitcnt vmcnt(28)                                        // 00000000BF84: BF8C4F7C
	v_mfma_f32_16x16x32_fp8_fp8 v[112:115], a[224:225], v[224:225], v[112:115]// 00000000BF88: D3F30070 0DC3C1E0
	buffer_load_dwordx4 a[96:99], v42, s[24:27], 0 offen       // 00000000BF90: E05C1000 8086602A
	v_mfma_f32_16x16x32_fp8_fp8 v[112:115], a[226:227], v[226:227], v[112:115]// 00000000BF98: D3F30070 0DC3C5E2
	ds_read_b64 v[192:193], v13 offset:2048                    // 00000000BFA0: D8EC0800 C000000D
	ds_read_b64 v[194:195], v13 offset:2176                    // 00000000BFA8: D8EC0880 C200000D
	v_mfma_f32_16x16x32_fp8_fp8 v[112:115], a[228:229], v[228:229], v[112:115]// 00000000BFB0: D3F30070 0DC3C9E4
	v_mfma_f32_16x16x32_fp8_fp8 v[112:115], a[230:231], v[230:231], v[112:115]// 00000000BFB8: D3F30070 0DC3CDE6
	ds_read_b64 v[196:197], v13 offset:3072                    // 00000000BFC0: D8EC0C00 C400000D
	ds_read_b64 v[198:199], v13 offset:3200                    // 00000000BFC8: D8EC0C80 C600000D
	v_mfma_f32_16x16x32_fp8_fp8 v[112:115], a[232:233], v[232:233], v[112:115]// 00000000BFD0: D3F30070 0DC3D1E8
	buffer_load_dwordx4 a[100:103], v42, s[24:27], 0 offen offset:1024// 00000000BFD8: E05C1400 8086642A
	v_mfma_f32_16x16x32_fp8_fp8 v[112:115], a[234:235], v[234:235], v[112:115]// 00000000BFE0: D3F30070 0DC3D5EA
	ds_read_b64 v[200:201], v13 offset:4096                    // 00000000BFE8: D8EC1000 C800000D
	ds_read_b64 v[202:203], v13 offset:4224                    // 00000000BFF0: D8EC1080 CA00000D
	v_mfma_f32_16x16x32_fp8_fp8 v[112:115], a[236:237], v[236:237], v[112:115]// 00000000BFF8: D3F30070 0DC3D9EC
	v_mfma_f32_16x16x32_fp8_fp8 v[112:115], a[238:239], v[238:239], v[112:115]// 00000000C000: D3F30070 0DC3DDEE
	ds_read_b64 v[204:205], v13 offset:5120                    // 00000000C008: D8EC1400 CC00000D
	ds_read_b64 v[206:207], v13 offset:5248                    // 00000000C010: D8EC1480 CE00000D
	v_mfma_f32_16x16x32_fp8_fp8 v[116:119], a[224:225], v[240:241], v[116:119]// 00000000C018: D3F30074 0DD3E1E0
	buffer_load_dwordx4 a[104:107], v42, s[24:27], 0 offen offset:2048// 00000000C020: E05C1800 8086682A
	v_mfma_f32_16x16x32_fp8_fp8 v[116:119], a[226:227], v[242:243], v[116:119]// 00000000C028: D3F30074 0DD3E5E2
	ds_read_b64 v[208:209], v13 offset:6144                    // 00000000C030: D8EC1800 D000000D
	ds_read_b64 v[210:211], v13 offset:6272                    // 00000000C038: D8EC1880 D200000D
	v_mfma_f32_16x16x32_fp8_fp8 v[116:119], a[228:229], v[244:245], v[116:119]// 00000000C040: D3F30074 0DD3E9E4
	v_mfma_f32_16x16x32_fp8_fp8 v[116:119], a[230:231], v[246:247], v[116:119]// 00000000C048: D3F30074 0DD3EDE6
	ds_read_b64 v[212:213], v13 offset:7168                    // 00000000C050: D8EC1C00 D400000D
	ds_read_b64 v[214:215], v13 offset:7296                    // 00000000C058: D8EC1C80 D600000D
	v_mfma_f32_16x16x32_fp8_fp8 v[116:119], a[232:233], v[248:249], v[116:119]// 00000000C060: D3F30074 0DD3F1E8
	buffer_load_dwordx4 a[108:111], v42, s[24:27], 0 offen offset:3072// 00000000C068: E05C1C00 80866C2A
	v_mfma_f32_16x16x32_fp8_fp8 v[116:119], a[234:235], v[250:251], v[116:119]// 00000000C070: D3F30074 0DD3F5EA
	ds_read_b64 v[216:217], v13 offset:8192                    // 00000000C078: D8EC2000 D800000D
	ds_read_b64 v[218:219], v13 offset:8320                    // 00000000C080: D8EC2080 DA00000D
	v_mfma_f32_16x16x32_fp8_fp8 v[116:119], a[236:237], v[252:253], v[116:119]// 00000000C088: D3F30074 0DD3F9EC
	v_mfma_f32_16x16x32_fp8_fp8 v[116:119], a[238:239], v[254:255], v[116:119]// 00000000C090: D3F30074 0DD3FDEE
	ds_read_b64 v[220:221], v13 offset:9216                    // 00000000C098: D8EC2400 DC00000D
	ds_read_b64 v[222:223], v13 offset:9344                    // 00000000C0A0: D8EC2480 DE00000D
	s_waitcnt vmcnt(28)                                        // 00000000C0A8: BF8C4F7C
	v_mfma_f32_16x16x32_fp8_fp8 v[120:123], a[240:241], v[224:225], v[120:123]// 00000000C0AC: D3F30078 0DE3C1F0
	buffer_load_dwordx4 a[112:115], v43, s[24:27], 0 offen     // 00000000C0B4: E05C1000 8086702B
	v_mfma_f32_16x16x32_fp8_fp8 v[120:123], a[242:243], v[226:227], v[120:123]// 00000000C0BC: D3F30078 0DE3C5F2
	v_mfma_f32_16x16x32_fp8_fp8 v[120:123], a[244:245], v[228:229], v[120:123]// 00000000C0C4: D3F30078 0DE3C9F4
	v_mfma_f32_16x16x32_fp8_fp8 v[120:123], a[246:247], v[230:231], v[120:123]// 00000000C0CC: D3F30078 0DE3CDF6
	v_mfma_f32_16x16x32_fp8_fp8 v[120:123], a[248:249], v[232:233], v[120:123]// 00000000C0D4: D3F30078 0DE3D1F8
	buffer_load_dwordx4 a[116:119], v43, s[24:27], 0 offen offset:1024// 00000000C0DC: E05C1400 8086742B
	v_mfma_f32_16x16x32_fp8_fp8 v[120:123], a[250:251], v[234:235], v[120:123]// 00000000C0E4: D3F30078 0DE3D5FA
	v_mfma_f32_16x16x32_fp8_fp8 v[120:123], a[252:253], v[236:237], v[120:123]// 00000000C0EC: D3F30078 0DE3D9FC
	v_mfma_f32_16x16x32_fp8_fp8 v[120:123], a[254:255], v[238:239], v[120:123]// 00000000C0F4: D3F30078 0DE3DDFE
	v_mfma_f32_16x16x32_fp8_fp8 v[124:127], a[240:241], v[240:241], v[124:127]// 00000000C0FC: D3F3007C 0DF3E1F0
	buffer_load_dwordx4 a[120:123], v43, s[24:27], 0 offen offset:2048// 00000000C104: E05C1800 8086782B
	v_mfma_f32_16x16x32_fp8_fp8 v[124:127], a[242:243], v[242:243], v[124:127]// 00000000C10C: D3F3007C 0DF3E5F2
	v_mfma_f32_16x16x32_fp8_fp8 v[124:127], a[244:245], v[244:245], v[124:127]// 00000000C114: D3F3007C 0DF3E9F4
	v_mfma_f32_16x16x32_fp8_fp8 v[124:127], a[246:247], v[246:247], v[124:127]// 00000000C11C: D3F3007C 0DF3EDF6
	v_mfma_f32_16x16x32_fp8_fp8 v[124:127], a[248:249], v[248:249], v[124:127]// 00000000C124: D3F3007C 0DF3F1F8
	buffer_load_dwordx4 a[124:127], v43, s[24:27], 0 offen offset:3072// 00000000C12C: E05C1C00 80867C2B
	v_mfma_f32_16x16x32_fp8_fp8 v[124:127], a[250:251], v[250:251], v[124:127]// 00000000C134: D3F3007C 0DF3F5FA
	v_mfma_f32_16x16x32_fp8_fp8 v[124:127], a[252:253], v[252:253], v[124:127]// 00000000C13C: D3F3007C 0DF3F9FC
	v_mfma_f32_16x16x32_fp8_fp8 v[124:127], a[254:255], v[254:255], v[124:127]// 00000000C144: D3F3007C 0DF3FDFE
	s_add_u32 s60, 0x200, s80                                  // 00000000C14C: 803C50FF 00000200
	s_cmp_lt_u32 s60, s81                                      // 00000000C154: BF0A513C
	s_cselect_b32 s57, s57, 0                                  // 00000000C158: 85398039
	s_cselect_b32 s91, s91, 0                                  // 00000000C15C: 855B805B
	s_add_u32 s60, 0x200, s80                                  // 00000000C160: 803C50FF 00000200
	s_cmp_lt_u32 s60, s81                                      // 00000000C168: BF0A513C
	s_cselect_b32 s58, s58, 0                                  // 00000000C16C: 853A803A
	s_add_u32 s20, s57, s20                                    // 00000000C170: 80141439
	s_addc_u32 s21, 0, s21                                     // 00000000C174: 82151580
	s_add_u32 s28, s91, s28                                    // 00000000C178: 801C1C5B
	s_addc_u32 s29, 0, s29                                     // 00000000C17C: 821D1D80
	s_add_u32 s24, s58, s24                                    // 00000000C180: 8018183A
	s_addc_u32 s25, 0, s25                                     // 00000000C184: 82191980
	s_add_u32 s92, s90, s92                                    // 00000000C188: 805C5C5A
	s_addc_u32 s93, 0, s93                                     // 00000000C18C: 825D5D80
	v_mov_b32_e32 v44, v26                                     // 00000000C190: 7E58031A
	v_mov_b32_e32 v46, v27                                     // 00000000C194: 7E5C031B
	v_mov_b32_e32 v45, v44                                     // 00000000C198: 7E5A032C
	v_mov_b32_e32 v47, v46                                     // 00000000C19C: 7E5E032E
	v_pk_mul_f32 v[64:65], v[44:45], v[64:65]                  // 00000000C1A0: D3B14040 1802812C
	v_pk_mul_f32 v[66:67], v[44:45], v[66:67]                  // 00000000C1A8: D3B14042 1802852C
	v_pk_mul_f32 v[68:69], v[46:47], v[68:69]                  // 00000000C1B0: D3B14044 1802892E
	v_pk_mul_f32 v[70:71], v[46:47], v[70:71]                  // 00000000C1B8: D3B14046 18028D2E
	v_pk_mul_f32 v[72:73], v[44:45], v[72:73]                  // 00000000C1C0: D3B14048 1802912C
	v_pk_mul_f32 v[74:75], v[44:45], v[74:75]                  // 00000000C1C8: D3B1404A 1802952C
	v_pk_mul_f32 v[76:77], v[46:47], v[76:77]                  // 00000000C1D0: D3B1404C 1802992E
	v_pk_mul_f32 v[78:79], v[46:47], v[78:79]                  // 00000000C1D8: D3B1404E 18029D2E
	v_pk_mul_f32 v[80:81], v[44:45], v[80:81]                  // 00000000C1E0: D3B14050 1802A12C
	v_pk_mul_f32 v[82:83], v[44:45], v[82:83]                  // 00000000C1E8: D3B14052 1802A52C
	v_pk_mul_f32 v[84:85], v[46:47], v[84:85]                  // 00000000C1F0: D3B14054 1802A92E
	v_pk_mul_f32 v[86:87], v[46:47], v[86:87]                  // 00000000C1F8: D3B14056 1802AD2E
	v_pk_mul_f32 v[88:89], v[44:45], v[88:89]                  // 00000000C200: D3B14058 1802B12C
	v_pk_mul_f32 v[90:91], v[44:45], v[90:91]                  // 00000000C208: D3B1405A 1802B52C
	v_pk_mul_f32 v[92:93], v[46:47], v[92:93]                  // 00000000C210: D3B1405C 1802B92E
	v_pk_mul_f32 v[94:95], v[46:47], v[94:95]                  // 00000000C218: D3B1405E 1802BD2E
	v_pk_mul_f32 v[96:97], v[44:45], v[96:97]                  // 00000000C220: D3B14060 1802C12C
	v_pk_mul_f32 v[98:99], v[44:45], v[98:99]                  // 00000000C228: D3B14062 1802C52C
	v_pk_mul_f32 v[100:101], v[46:47], v[100:101]              // 00000000C230: D3B14064 1802C92E
	v_pk_mul_f32 v[102:103], v[46:47], v[102:103]              // 00000000C238: D3B14066 1802CD2E
	v_pk_mul_f32 v[104:105], v[44:45], v[104:105]              // 00000000C240: D3B14068 1802D12C
	v_pk_mul_f32 v[106:107], v[44:45], v[106:107]              // 00000000C248: D3B1406A 1802D52C
	v_pk_mul_f32 v[108:109], v[46:47], v[108:109]              // 00000000C250: D3B1406C 1802D92E
	v_pk_mul_f32 v[110:111], v[46:47], v[110:111]              // 00000000C258: D3B1406E 1802DD2E
	v_pk_mul_f32 v[112:113], v[44:45], v[112:113]              // 00000000C260: D3B14070 1802E12C
	v_pk_mul_f32 v[114:115], v[44:45], v[114:115]              // 00000000C268: D3B14072 1802E52C
	v_pk_mul_f32 v[116:117], v[46:47], v[116:117]              // 00000000C270: D3B14074 1802E92E
	v_pk_mul_f32 v[118:119], v[46:47], v[118:119]              // 00000000C278: D3B14076 1802ED2E
	v_pk_mul_f32 v[120:121], v[44:45], v[120:121]              // 00000000C280: D3B14078 1802F12C
	v_pk_mul_f32 v[122:123], v[44:45], v[122:123]              // 00000000C288: D3B1407A 1802F52C
	v_pk_mul_f32 v[124:125], v[46:47], v[124:125]              // 00000000C290: D3B1407C 1802F92E
	v_pk_mul_f32 v[126:127], v[46:47], v[126:127]              // 00000000C298: D3B1407E 1802FD2E
	s_addk_i32 s80, 0x100                                      // 00000000C2A0: B7500100
	s_cmp_lt_i32 s80, s81                                      // 00000000C2A4: BF045150
	s_cbranch_scc0 label_252C                                  // 00000000C2A8: BF840001
	s_branch label_1A83                                        // 00000000C2AC: BF82F557

000000000000c2b0 <label_252C>:
	s_mov_b32 s36, -1                                          // 00000000C2B0: BEA400C1
	s_mov_b32 s37, -1                                          // 00000000C2B4: BEA500C1
	s_mov_b64 s[60:61], 0                                      // 00000000C2B8: BEBC0180
	s_cmp_lt_u32 s82, s66                                      // 00000000C2BC: BF0A4252
	s_cselect_b64 s[20:21], s[36:37], s[60:61]                 // 00000000C2C0: 85943C24
	s_cmp_lt_u32 s83, s66                                      // 00000000C2C4: BF0A4253
	s_cselect_b64 s[22:23], s[36:37], s[60:61]                 // 00000000C2C8: 85963C24
	s_cmp_lt_u32 s84, s66                                      // 00000000C2CC: BF0A4254
	s_cselect_b64 s[24:25], s[36:37], s[60:61]                 // 00000000C2D0: 85983C24
	s_cmp_lt_u32 s85, s66                                      // 00000000C2D4: BF0A4255
	s_cselect_b64 s[26:27], s[36:37], s[60:61]                 // 00000000C2D8: 859A3C24
	s_cmp_lt_u32 s86, s66                                      // 00000000C2DC: BF0A4256
	s_cselect_b64 s[28:29], s[36:37], s[60:61]                 // 00000000C2E0: 859C3C24
	s_cmp_lt_u32 s87, s66                                      // 00000000C2E4: BF0A4257
	s_cselect_b64 s[30:31], s[36:37], s[60:61]                 // 00000000C2E8: 859E3C24
	s_cmp_lt_u32 s88, s66                                      // 00000000C2EC: BF0A4258
	s_cselect_b64 s[32:33], s[36:37], s[60:61]                 // 00000000C2F0: 85A03C24
	s_cmp_lt_u32 s89, s66                                      // 00000000C2F4: BF0A4259
	s_cselect_b64 s[34:35], s[36:37], s[60:61]                 // 00000000C2F8: 85A23C24
	v_mov_b32_e32 v56, 0xbfcc4231                              // 00000000C2FC: 7E7002FF BFCC4231
	v_mov_b32_e32 v57, 0xbfcc4231                              // 00000000C304: 7E7202FF BFCC4231
	v_mov_b32_e32 v53, 0xffff0000                              // 00000000C30C: 7E6A02FF FFFF0000
	v_mov_b32_e32 v54, 0x7fff0000                              // 00000000C314: 7E6C02FF 7FFF0000
	v_mov_b32_e32 v55, 0x7fff                                  // 00000000C31C: 7E6E02FF 00007FFF
	s_mul_i32 s60, s5, 16                                      // 00000000C324: 923C9005
	s_mul_i32 s60, s60, s70                                    // 00000000C328: 923C463C
	v_lshlrev_b32_e32 v48, 4, v0                               // 00000000C32C: 24600084
	v_add_u32_e32 v48, s60, v48                                // 00000000C330: 6860603C
	s_mul_i32 s60, 64, s70                                     // 00000000C334: 923C46C0
	v_add_u32_e32 v49, s60, v48                                // 00000000C338: 6862603C
	v_add_u32_e32 v50, s60, v49                                // 00000000C33C: 6864623C
	v_add_u32_e32 v51, s60, v50                                // 00000000C340: 6866643C
	v_lshrrev_b32_e32 v44, 4, v0                               // 00000000C344: 20580084
	v_mul_i32_i24_e32 v3, 34, v44                              // 00000000C348: 0C0658A2
	v_and_b32_e32 v44, 15, v0                                  // 00000000C34C: 2658008F
	v_mul_i32_i24_e32 v45, 2, v44                              // 00000000C350: 0C5A5882
	v_add_u32_e32 v3, v45, v3                                  // 00000000C354: 6806072D
	s_mul_i32 s60, s5, 0x88                                    // 00000000C358: 923CFF05 00000088
	v_add_u32_e32 v3, s60, v3                                  // 00000000C360: 6806063C
	v_lshlrev_b32_e32 v3, 2, v3                                // 00000000C364: 24060682
	v_lshrrev_b32_e32 v44, 1, v0                               // 00000000C368: 20580081
	v_mul_i32_i24_e32 v4, 34, v44                              // 00000000C36C: 0C0858A2
	v_and_b32_e32 v45, 1, v0                                   // 00000000C370: 265A0081
	v_add_u32_e32 v4, v45, v4                                  // 00000000C374: 6808092D
	s_mul_i32 s60, s5, 2                                       // 00000000C378: 923C8205
	v_add_u32_e32 v4, s60, v4                                  // 00000000C37C: 6808083C
	v_lshlrev_b32_e32 v4, 2, v4                                // 00000000C380: 24080882
	v_mul_f32_dpp v128, v16, v128 row_newbcast:0 row_mask:0xf bank_mask:0xf// 00000000C384: 0B0100FA FF015010
	v_mul_f32_dpp v129, v16, v129 row_newbcast:1 row_mask:0xf bank_mask:0xf// 00000000C38C: 0B0302FA FF015110
	v_mul_f32_dpp v130, v16, v130 row_newbcast:2 row_mask:0xf bank_mask:0xf// 00000000C394: 0B0504FA FF015210
	v_mul_f32_dpp v131, v16, v131 row_newbcast:3 row_mask:0xf bank_mask:0xf// 00000000C39C: 0B0706FA FF015310
	v_mul_f32_dpp v132, v16, v132 row_newbcast:0 row_mask:0xf bank_mask:0xf// 00000000C3A4: 0B0908FA FF015010
	v_mul_f32_dpp v133, v16, v133 row_newbcast:1 row_mask:0xf bank_mask:0xf// 00000000C3AC: 0B0B0AFA FF015110
	v_mul_f32_dpp v134, v16, v134 row_newbcast:2 row_mask:0xf bank_mask:0xf// 00000000C3B4: 0B0D0CFA FF015210
	v_mul_f32_dpp v135, v16, v135 row_newbcast:3 row_mask:0xf bank_mask:0xf// 00000000C3BC: 0B0F0EFA FF015310
	v_mul_f32_dpp v136, v16, v136 row_newbcast:4 row_mask:0xf bank_mask:0xf// 00000000C3C4: 0B1110FA FF015410
	v_mul_f32_dpp v137, v16, v137 row_newbcast:5 row_mask:0xf bank_mask:0xf// 00000000C3CC: 0B1312FA FF015510
	v_mul_f32_dpp v138, v16, v138 row_newbcast:6 row_mask:0xf bank_mask:0xf// 00000000C3D4: 0B1514FA FF015610
	v_mul_f32_dpp v139, v16, v139 row_newbcast:7 row_mask:0xf bank_mask:0xf// 00000000C3DC: 0B1716FA FF015710
	v_mul_f32_dpp v140, v16, v140 row_newbcast:4 row_mask:0xf bank_mask:0xf// 00000000C3E4: 0B1918FA FF015410
	v_mul_f32_dpp v141, v16, v141 row_newbcast:5 row_mask:0xf bank_mask:0xf// 00000000C3EC: 0B1B1AFA FF015510
	v_mul_f32_dpp v142, v16, v142 row_newbcast:6 row_mask:0xf bank_mask:0xf// 00000000C3F4: 0B1D1CFA FF015610
	v_mul_f32_dpp v143, v16, v143 row_newbcast:7 row_mask:0xf bank_mask:0xf// 00000000C3FC: 0B1F1EFA FF015710
	v_mul_f32_dpp v144, v16, v144 row_newbcast:8 row_mask:0xf bank_mask:0xf// 00000000C404: 0B2120FA FF015810
	v_mul_f32_dpp v145, v16, v145 row_newbcast:9 row_mask:0xf bank_mask:0xf// 00000000C40C: 0B2322FA FF015910
	v_mul_f32_dpp v146, v16, v146 row_newbcast:10 row_mask:0xf bank_mask:0xf// 00000000C414: 0B2524FA FF015A10
	v_mul_f32_dpp v147, v16, v147 row_newbcast:11 row_mask:0xf bank_mask:0xf// 00000000C41C: 0B2726FA FF015B10
	v_mul_f32_dpp v148, v16, v148 row_newbcast:8 row_mask:0xf bank_mask:0xf// 00000000C424: 0B2928FA FF015810
	v_mul_f32_dpp v149, v16, v149 row_newbcast:9 row_mask:0xf bank_mask:0xf// 00000000C42C: 0B2B2AFA FF015910
	v_mul_f32_dpp v150, v16, v150 row_newbcast:10 row_mask:0xf bank_mask:0xf// 00000000C434: 0B2D2CFA FF015A10
	v_mul_f32_dpp v151, v16, v151 row_newbcast:11 row_mask:0xf bank_mask:0xf// 00000000C43C: 0B2F2EFA FF015B10
	v_mul_f32_dpp v152, v16, v152 row_newbcast:12 row_mask:0xf bank_mask:0xf// 00000000C444: 0B3130FA FF015C10
	v_mul_f32_dpp v153, v16, v153 row_newbcast:13 row_mask:0xf bank_mask:0xf// 00000000C44C: 0B3332FA FF015D10
	v_mul_f32_dpp v154, v16, v154 row_newbcast:14 row_mask:0xf bank_mask:0xf// 00000000C454: 0B3534FA FF015E10
	v_mul_f32_dpp v155, v16, v155 row_newbcast:15 row_mask:0xf bank_mask:0xf// 00000000C45C: 0B3736FA FF015F10
	v_mul_f32_dpp v156, v16, v156 row_newbcast:12 row_mask:0xf bank_mask:0xf// 00000000C464: 0B3938FA FF015C10
	v_mul_f32_dpp v157, v16, v157 row_newbcast:13 row_mask:0xf bank_mask:0xf// 00000000C46C: 0B3B3AFA FF015D10
	v_mul_f32_dpp v158, v16, v158 row_newbcast:14 row_mask:0xf bank_mask:0xf// 00000000C474: 0B3D3CFA FF015E10
	v_mul_f32_dpp v159, v16, v159 row_newbcast:15 row_mask:0xf bank_mask:0xf// 00000000C47C: 0B3F3EFA FF015F10
	v_mul_f32_dpp v160, v17, v160 row_newbcast:0 row_mask:0xf bank_mask:0xf// 00000000C484: 0B4140FA FF015011
	v_mul_f32_dpp v161, v17, v161 row_newbcast:1 row_mask:0xf bank_mask:0xf// 00000000C48C: 0B4342FA FF015111
	v_mul_f32_dpp v162, v17, v162 row_newbcast:2 row_mask:0xf bank_mask:0xf// 00000000C494: 0B4544FA FF015211
	v_mul_f32_dpp v163, v17, v163 row_newbcast:3 row_mask:0xf bank_mask:0xf// 00000000C49C: 0B4746FA FF015311
	v_mul_f32_dpp v164, v17, v164 row_newbcast:0 row_mask:0xf bank_mask:0xf// 00000000C4A4: 0B4948FA FF015011
	v_mul_f32_dpp v165, v17, v165 row_newbcast:1 row_mask:0xf bank_mask:0xf// 00000000C4AC: 0B4B4AFA FF015111
	v_mul_f32_dpp v166, v17, v166 row_newbcast:2 row_mask:0xf bank_mask:0xf// 00000000C4B4: 0B4D4CFA FF015211
	v_mul_f32_dpp v167, v17, v167 row_newbcast:3 row_mask:0xf bank_mask:0xf// 00000000C4BC: 0B4F4EFA FF015311
	v_mul_f32_dpp v168, v17, v168 row_newbcast:4 row_mask:0xf bank_mask:0xf// 00000000C4C4: 0B5150FA FF015411
	v_mul_f32_dpp v169, v17, v169 row_newbcast:5 row_mask:0xf bank_mask:0xf// 00000000C4CC: 0B5352FA FF015511
	v_mul_f32_dpp v170, v17, v170 row_newbcast:6 row_mask:0xf bank_mask:0xf// 00000000C4D4: 0B5554FA FF015611
	v_mul_f32_dpp v171, v17, v171 row_newbcast:7 row_mask:0xf bank_mask:0xf// 00000000C4DC: 0B5756FA FF015711
	v_mul_f32_dpp v172, v17, v172 row_newbcast:4 row_mask:0xf bank_mask:0xf// 00000000C4E4: 0B5958FA FF015411
	v_mul_f32_dpp v173, v17, v173 row_newbcast:5 row_mask:0xf bank_mask:0xf// 00000000C4EC: 0B5B5AFA FF015511
	v_mul_f32_dpp v174, v17, v174 row_newbcast:6 row_mask:0xf bank_mask:0xf// 00000000C4F4: 0B5D5CFA FF015611
	v_mul_f32_dpp v175, v17, v175 row_newbcast:7 row_mask:0xf bank_mask:0xf// 00000000C4FC: 0B5F5EFA FF015711
	v_mul_f32_dpp v176, v17, v176 row_newbcast:8 row_mask:0xf bank_mask:0xf// 00000000C504: 0B6160FA FF015811
	v_mul_f32_dpp v177, v17, v177 row_newbcast:9 row_mask:0xf bank_mask:0xf// 00000000C50C: 0B6362FA FF015911
	v_mul_f32_dpp v178, v17, v178 row_newbcast:10 row_mask:0xf bank_mask:0xf// 00000000C514: 0B6564FA FF015A11
	v_mul_f32_dpp v179, v17, v179 row_newbcast:11 row_mask:0xf bank_mask:0xf// 00000000C51C: 0B6766FA FF015B11
	v_mul_f32_dpp v180, v17, v180 row_newbcast:8 row_mask:0xf bank_mask:0xf// 00000000C524: 0B6968FA FF015811
	v_mul_f32_dpp v181, v17, v181 row_newbcast:9 row_mask:0xf bank_mask:0xf// 00000000C52C: 0B6B6AFA FF015911
	v_mul_f32_dpp v182, v17, v182 row_newbcast:10 row_mask:0xf bank_mask:0xf// 00000000C534: 0B6D6CFA FF015A11
	v_mul_f32_dpp v183, v17, v183 row_newbcast:11 row_mask:0xf bank_mask:0xf// 00000000C53C: 0B6F6EFA FF015B11
	v_mul_f32_dpp v184, v17, v184 row_newbcast:12 row_mask:0xf bank_mask:0xf// 00000000C544: 0B7170FA FF015C11
	v_mul_f32_dpp v185, v17, v185 row_newbcast:13 row_mask:0xf bank_mask:0xf// 00000000C54C: 0B7372FA FF015D11
	v_mul_f32_dpp v186, v17, v186 row_newbcast:14 row_mask:0xf bank_mask:0xf// 00000000C554: 0B7574FA FF015E11
	v_mul_f32_dpp v187, v17, v187 row_newbcast:15 row_mask:0xf bank_mask:0xf// 00000000C55C: 0B7776FA FF015F11
	v_mul_f32_dpp v188, v17, v188 row_newbcast:12 row_mask:0xf bank_mask:0xf// 00000000C564: 0B7978FA FF015C11
	v_mul_f32_dpp v189, v17, v189 row_newbcast:13 row_mask:0xf bank_mask:0xf// 00000000C56C: 0B7B7AFA FF015D11
	v_mul_f32_dpp v190, v17, v190 row_newbcast:14 row_mask:0xf bank_mask:0xf// 00000000C574: 0B7D7CFA FF015E11
	v_mul_f32_dpp v191, v17, v191 row_newbcast:15 row_mask:0xf bank_mask:0xf// 00000000C57C: 0B7F7EFA FF015F11
	v_mul_f32_dpp v64, v8, v64 row_newbcast:0 row_mask:0xf bank_mask:0xf// 00000000C584: 0A8080FA FF015008
	v_mul_f32_dpp v65, v8, v65 row_newbcast:1 row_mask:0xf bank_mask:0xf// 00000000C58C: 0A8282FA FF015108
	v_mul_f32_dpp v66, v8, v66 row_newbcast:2 row_mask:0xf bank_mask:0xf// 00000000C594: 0A8484FA FF015208
	v_mul_f32_dpp v67, v8, v67 row_newbcast:3 row_mask:0xf bank_mask:0xf// 00000000C59C: 0A8686FA FF015308
	v_mul_f32_dpp v68, v8, v68 row_newbcast:0 row_mask:0xf bank_mask:0xf// 00000000C5A4: 0A8888FA FF015008
	v_mul_f32_dpp v69, v8, v69 row_newbcast:1 row_mask:0xf bank_mask:0xf// 00000000C5AC: 0A8A8AFA FF015108
	v_mul_f32_dpp v70, v8, v70 row_newbcast:2 row_mask:0xf bank_mask:0xf// 00000000C5B4: 0A8C8CFA FF015208
	v_mul_f32_dpp v71, v8, v71 row_newbcast:3 row_mask:0xf bank_mask:0xf// 00000000C5BC: 0A8E8EFA FF015308
	v_mul_f32_dpp v72, v8, v72 row_newbcast:4 row_mask:0xf bank_mask:0xf// 00000000C5C4: 0A9090FA FF015408
	v_mul_f32_dpp v73, v8, v73 row_newbcast:5 row_mask:0xf bank_mask:0xf// 00000000C5CC: 0A9292FA FF015508
	v_mul_f32_dpp v74, v8, v74 row_newbcast:6 row_mask:0xf bank_mask:0xf// 00000000C5D4: 0A9494FA FF015608
	v_mul_f32_dpp v75, v8, v75 row_newbcast:7 row_mask:0xf bank_mask:0xf// 00000000C5DC: 0A9696FA FF015708
	v_mul_f32_dpp v76, v8, v76 row_newbcast:4 row_mask:0xf bank_mask:0xf// 00000000C5E4: 0A9898FA FF015408
	v_mul_f32_dpp v77, v8, v77 row_newbcast:5 row_mask:0xf bank_mask:0xf// 00000000C5EC: 0A9A9AFA FF015508
	v_mul_f32_dpp v78, v8, v78 row_newbcast:6 row_mask:0xf bank_mask:0xf// 00000000C5F4: 0A9C9CFA FF015608
	v_mul_f32_dpp v79, v8, v79 row_newbcast:7 row_mask:0xf bank_mask:0xf// 00000000C5FC: 0A9E9EFA FF015708
	v_mul_f32_dpp v80, v8, v80 row_newbcast:8 row_mask:0xf bank_mask:0xf// 00000000C604: 0AA0A0FA FF015808
	v_mul_f32_dpp v81, v8, v81 row_newbcast:9 row_mask:0xf bank_mask:0xf// 00000000C60C: 0AA2A2FA FF015908
	v_mul_f32_dpp v82, v8, v82 row_newbcast:10 row_mask:0xf bank_mask:0xf// 00000000C614: 0AA4A4FA FF015A08
	v_mul_f32_dpp v83, v8, v83 row_newbcast:11 row_mask:0xf bank_mask:0xf// 00000000C61C: 0AA6A6FA FF015B08
	v_mul_f32_dpp v84, v8, v84 row_newbcast:8 row_mask:0xf bank_mask:0xf// 00000000C624: 0AA8A8FA FF015808
	v_mul_f32_dpp v85, v8, v85 row_newbcast:9 row_mask:0xf bank_mask:0xf// 00000000C62C: 0AAAAAFA FF015908
	v_mul_f32_dpp v86, v8, v86 row_newbcast:10 row_mask:0xf bank_mask:0xf// 00000000C634: 0AACACFA FF015A08
	v_mul_f32_dpp v87, v8, v87 row_newbcast:11 row_mask:0xf bank_mask:0xf// 00000000C63C: 0AAEAEFA FF015B08
	v_mul_f32_dpp v88, v8, v88 row_newbcast:12 row_mask:0xf bank_mask:0xf// 00000000C644: 0AB0B0FA FF015C08
	v_mul_f32_dpp v89, v8, v89 row_newbcast:13 row_mask:0xf bank_mask:0xf// 00000000C64C: 0AB2B2FA FF015D08
	v_mul_f32_dpp v90, v8, v90 row_newbcast:14 row_mask:0xf bank_mask:0xf// 00000000C654: 0AB4B4FA FF015E08
	v_mul_f32_dpp v91, v8, v91 row_newbcast:15 row_mask:0xf bank_mask:0xf// 00000000C65C: 0AB6B6FA FF015F08
	v_mul_f32_dpp v92, v8, v92 row_newbcast:12 row_mask:0xf bank_mask:0xf// 00000000C664: 0AB8B8FA FF015C08
	v_mul_f32_dpp v93, v8, v93 row_newbcast:13 row_mask:0xf bank_mask:0xf// 00000000C66C: 0ABABAFA FF015D08
	v_mul_f32_dpp v94, v8, v94 row_newbcast:14 row_mask:0xf bank_mask:0xf// 00000000C674: 0ABCBCFA FF015E08
	v_mul_f32_dpp v95, v8, v95 row_newbcast:15 row_mask:0xf bank_mask:0xf// 00000000C67C: 0ABEBEFA FF015F08
	v_mul_f32_dpp v96, v9, v96 row_newbcast:0 row_mask:0xf bank_mask:0xf// 00000000C684: 0AC0C0FA FF015009
	v_mul_f32_dpp v97, v9, v97 row_newbcast:1 row_mask:0xf bank_mask:0xf// 00000000C68C: 0AC2C2FA FF015109
	v_mul_f32_dpp v98, v9, v98 row_newbcast:2 row_mask:0xf bank_mask:0xf// 00000000C694: 0AC4C4FA FF015209
	v_mul_f32_dpp v99, v9, v99 row_newbcast:3 row_mask:0xf bank_mask:0xf// 00000000C69C: 0AC6C6FA FF015309
	v_mul_f32_dpp v100, v9, v100 row_newbcast:0 row_mask:0xf bank_mask:0xf// 00000000C6A4: 0AC8C8FA FF015009
	v_mul_f32_dpp v101, v9, v101 row_newbcast:1 row_mask:0xf bank_mask:0xf// 00000000C6AC: 0ACACAFA FF015109
	v_mul_f32_dpp v102, v9, v102 row_newbcast:2 row_mask:0xf bank_mask:0xf// 00000000C6B4: 0ACCCCFA FF015209
	v_mul_f32_dpp v103, v9, v103 row_newbcast:3 row_mask:0xf bank_mask:0xf// 00000000C6BC: 0ACECEFA FF015309
	v_mul_f32_dpp v104, v9, v104 row_newbcast:4 row_mask:0xf bank_mask:0xf// 00000000C6C4: 0AD0D0FA FF015409
	v_mul_f32_dpp v105, v9, v105 row_newbcast:5 row_mask:0xf bank_mask:0xf// 00000000C6CC: 0AD2D2FA FF015509
	v_mul_f32_dpp v106, v9, v106 row_newbcast:6 row_mask:0xf bank_mask:0xf// 00000000C6D4: 0AD4D4FA FF015609
	v_mul_f32_dpp v107, v9, v107 row_newbcast:7 row_mask:0xf bank_mask:0xf// 00000000C6DC: 0AD6D6FA FF015709
	v_mul_f32_dpp v108, v9, v108 row_newbcast:4 row_mask:0xf bank_mask:0xf// 00000000C6E4: 0AD8D8FA FF015409
	v_mul_f32_dpp v109, v9, v109 row_newbcast:5 row_mask:0xf bank_mask:0xf// 00000000C6EC: 0ADADAFA FF015509
	v_mul_f32_dpp v110, v9, v110 row_newbcast:6 row_mask:0xf bank_mask:0xf// 00000000C6F4: 0ADCDCFA FF015609
	v_mul_f32_dpp v111, v9, v111 row_newbcast:7 row_mask:0xf bank_mask:0xf// 00000000C6FC: 0ADEDEFA FF015709
	v_mul_f32_dpp v112, v9, v112 row_newbcast:8 row_mask:0xf bank_mask:0xf// 00000000C704: 0AE0E0FA FF015809
	v_mul_f32_dpp v113, v9, v113 row_newbcast:9 row_mask:0xf bank_mask:0xf// 00000000C70C: 0AE2E2FA FF015909
	v_mul_f32_dpp v114, v9, v114 row_newbcast:10 row_mask:0xf bank_mask:0xf// 00000000C714: 0AE4E4FA FF015A09
	v_mul_f32_dpp v115, v9, v115 row_newbcast:11 row_mask:0xf bank_mask:0xf// 00000000C71C: 0AE6E6FA FF015B09
	v_mul_f32_dpp v116, v9, v116 row_newbcast:8 row_mask:0xf bank_mask:0xf// 00000000C724: 0AE8E8FA FF015809
	v_mul_f32_dpp v117, v9, v117 row_newbcast:9 row_mask:0xf bank_mask:0xf// 00000000C72C: 0AEAEAFA FF015909
	v_mul_f32_dpp v118, v9, v118 row_newbcast:10 row_mask:0xf bank_mask:0xf// 00000000C734: 0AECECFA FF015A09
	v_mul_f32_dpp v119, v9, v119 row_newbcast:11 row_mask:0xf bank_mask:0xf// 00000000C73C: 0AEEEEFA FF015B09
	v_mul_f32_dpp v120, v9, v120 row_newbcast:12 row_mask:0xf bank_mask:0xf// 00000000C744: 0AF0F0FA FF015C09
	v_mul_f32_dpp v121, v9, v121 row_newbcast:13 row_mask:0xf bank_mask:0xf// 00000000C74C: 0AF2F2FA FF015D09
	v_mul_f32_dpp v122, v9, v122 row_newbcast:14 row_mask:0xf bank_mask:0xf// 00000000C754: 0AF4F4FA FF015E09
	v_mul_f32_dpp v123, v9, v123 row_newbcast:15 row_mask:0xf bank_mask:0xf// 00000000C75C: 0AF6F6FA FF015F09
	v_mul_f32_dpp v124, v9, v124 row_newbcast:12 row_mask:0xf bank_mask:0xf// 00000000C764: 0AF8F8FA FF015C09
	v_mul_f32_dpp v125, v9, v125 row_newbcast:13 row_mask:0xf bank_mask:0xf// 00000000C76C: 0AFAFAFA FF015D09
	v_mul_f32_dpp v126, v9, v126 row_newbcast:14 row_mask:0xf bank_mask:0xf// 00000000C774: 0AFCFCFA FF015E09
	v_mul_f32_dpp v127, v9, v127 row_newbcast:15 row_mask:0xf bank_mask:0xf// 00000000C77C: 0AFEFEFA FF015F09
	s_waitcnt vmcnt(28)                                        // 00000000C784: BF8C4F7C
	buffer_load_dwordx4 a[0:3], v48, s[12:15], 0 offen         // 00000000C788: E05C1000 80830030
	v_mul_f32_e32 v44, v128, v128                              // 00000000C790: 0A590180
	v_mul_f32_e32 v45, v129, v129                              // 00000000C794: 0A5B0381
	v_mul_f32_e32 v46, v130, v130                              // 00000000C798: 0A5D0582
	v_mul_f32_e32 v47, v131, v131                              // 00000000C79C: 0A5F0783
	v_fma_f32 v44, v44, s3, v56                                // 00000000C7A0: D1CB002C 04E0072C
	v_fma_f32 v45, v45, s3, v56                                // 00000000C7A8: D1CB002D 04E0072D
	v_fma_f32 v46, v46, s3, v56                                // 00000000C7B0: D1CB002E 04E0072E
	v_fma_f32 v47, v47, s3, v56                                // 00000000C7B8: D1CB002F 04E0072F
	v_mul_f32_e32 v44, v44, v128                               // 00000000C7C0: 0A59012C
	v_mul_f32_e32 v45, v45, v129                               // 00000000C7C4: 0A5B032D
	v_mul_f32_e32 v46, v46, v130                               // 00000000C7C8: 0A5D052E
	v_mul_f32_e32 v47, v47, v131                               // 00000000C7CC: 0A5F072F
	v_mul_f32_e64 v44, v44, s6                                 // 00000000C7D0: D105002C 00000D2C
	v_mul_f32_e64 v45, v45, s6                                 // 00000000C7D8: D105002D 00000D2D
	v_mul_f32_e64 v46, v46, s6                                 // 00000000C7E0: D105002E 00000D2E
	v_mul_f32_e64 v47, v47, s6                                 // 00000000C7E8: D105002F 00000D2F
	v_exp_f32_e32 v44, v44                                     // 00000000C7F0: 7E58412C
	v_exp_f32_e32 v45, v45                                     // 00000000C7F4: 7E5A412D
	v_exp_f32_e32 v46, v46                                     // 00000000C7F8: 7E5C412E
	v_exp_f32_e32 v47, v47                                     // 00000000C7FC: 7E5E412F
	buffer_load_dwordx4 a[4:7], v49, s[12:15], 0 offen         // 00000000C800: E05C1000 80830431
	v_add_f32_e64 v44, v44, 1.0                                // 00000000C808: D101002C 0001E52C
	v_add_f32_e64 v45, v45, 1.0                                // 00000000C810: D101002D 0001E52D
	v_add_f32_e64 v46, v46, 1.0                                // 00000000C818: D101002E 0001E52E
	v_add_f32_e64 v47, v47, 1.0                                // 00000000C820: D101002F 0001E52F
	v_rcp_f32_e32 v44, v44                                     // 00000000C828: 7E58452C
	v_rcp_f32_e32 v45, v45                                     // 00000000C82C: 7E5A452D
	v_rcp_f32_e32 v46, v46                                     // 00000000C830: 7E5C452E
	v_rcp_f32_e32 v47, v47                                     // 00000000C834: 7E5E452F
	v_pk_mul_f32 v[128:129], v[128:129], v[44:45]              // 00000000C838: D3B14080 18025980
	v_pk_mul_f32 v[130:131], v[130:131], v[46:47]              // 00000000C840: D3B14082 18025D82
	v_pk_mul_f32 v[128:129], v[128:129], v[64:65]              // 00000000C848: D3B14080 18028180
	v_pk_mul_f32 v[130:131], v[130:131], v[66:67]              // 00000000C850: D3B14082 18028582
	buffer_load_dwordx4 a[8:11], v50, s[12:15], 0 offen        // 00000000C858: E05C1000 80830832
	v_mul_f32_e32 v44, v132, v132                              // 00000000C860: 0A590984
	v_mul_f32_e32 v45, v133, v133                              // 00000000C864: 0A5B0B85
	v_mul_f32_e32 v46, v134, v134                              // 00000000C868: 0A5D0D86
	v_mul_f32_e32 v47, v135, v135                              // 00000000C86C: 0A5F0F87
	v_fma_f32 v44, v44, s3, v56                                // 00000000C870: D1CB002C 04E0072C
	v_fma_f32 v45, v45, s3, v56                                // 00000000C878: D1CB002D 04E0072D
	v_fma_f32 v46, v46, s3, v56                                // 00000000C880: D1CB002E 04E0072E
	v_fma_f32 v47, v47, s3, v56                                // 00000000C888: D1CB002F 04E0072F
	v_mul_f32_e32 v44, v44, v132                               // 00000000C890: 0A59092C
	v_mul_f32_e32 v45, v45, v133                               // 00000000C894: 0A5B0B2D
	v_mul_f32_e32 v46, v46, v134                               // 00000000C898: 0A5D0D2E
	v_mul_f32_e32 v47, v47, v135                               // 00000000C89C: 0A5F0F2F
	v_mul_f32_e64 v44, v44, s6                                 // 00000000C8A0: D105002C 00000D2C
	v_mul_f32_e64 v45, v45, s6                                 // 00000000C8A8: D105002D 00000D2D
	v_mul_f32_e64 v46, v46, s6                                 // 00000000C8B0: D105002E 00000D2E
	v_mul_f32_e64 v47, v47, s6                                 // 00000000C8B8: D105002F 00000D2F
	v_exp_f32_e32 v44, v44                                     // 00000000C8C0: 7E58412C
	v_exp_f32_e32 v45, v45                                     // 00000000C8C4: 7E5A412D
	v_exp_f32_e32 v46, v46                                     // 00000000C8C8: 7E5C412E
	v_exp_f32_e32 v47, v47                                     // 00000000C8CC: 7E5E412F
	buffer_load_dwordx4 a[12:15], v51, s[12:15], 0 offen       // 00000000C8D0: E05C1000 80830C33
	s_add_u32 s12, s78, s12                                    // 00000000C8D8: 800C0C4E
	s_addc_u32 s13, 0, s13                                     // 00000000C8DC: 820D0D80
	v_add_f32_e64 v44, v44, 1.0                                // 00000000C8E0: D101002C 0001E52C
	v_add_f32_e64 v45, v45, 1.0                                // 00000000C8E8: D101002D 0001E52D
	v_add_f32_e64 v46, v46, 1.0                                // 00000000C8F0: D101002E 0001E52E
	v_add_f32_e64 v47, v47, 1.0                                // 00000000C8F8: D101002F 0001E52F
	v_rcp_f32_e32 v44, v44                                     // 00000000C900: 7E58452C
	v_rcp_f32_e32 v45, v45                                     // 00000000C904: 7E5A452D
	v_rcp_f32_e32 v46, v46                                     // 00000000C908: 7E5C452E
	v_rcp_f32_e32 v47, v47                                     // 00000000C90C: 7E5E452F
	v_pk_mul_f32 v[132:133], v[132:133], v[44:45]              // 00000000C910: D3B14084 18025984
	v_pk_mul_f32 v[134:135], v[134:135], v[46:47]              // 00000000C918: D3B14086 18025D86
	v_pk_mul_f32 v[132:133], v[132:133], v[68:69]              // 00000000C920: D3B14084 18028984
	v_pk_mul_f32 v[134:135], v[134:135], v[70:71]              // 00000000C928: D3B14086 18028D86
	s_waitcnt vmcnt(28)                                        // 00000000C930: BF8C4F7C
	buffer_load_dwordx4 a[16:19], v48, s[12:15], 0 offen       // 00000000C934: E05C1000 80831030
	v_mul_f32_e32 v44, v136, v136                              // 00000000C93C: 0A591188
	v_mul_f32_e32 v45, v137, v137                              // 00000000C940: 0A5B1389
	v_mul_f32_e32 v46, v138, v138                              // 00000000C944: 0A5D158A
	v_mul_f32_e32 v47, v139, v139                              // 00000000C948: 0A5F178B
	v_fma_f32 v44, v44, s3, v56                                // 00000000C94C: D1CB002C 04E0072C
	v_fma_f32 v45, v45, s3, v56                                // 00000000C954: D1CB002D 04E0072D
	v_fma_f32 v46, v46, s3, v56                                // 00000000C95C: D1CB002E 04E0072E
	v_fma_f32 v47, v47, s3, v56                                // 00000000C964: D1CB002F 04E0072F
	v_mul_f32_e32 v44, v44, v136                               // 00000000C96C: 0A59112C
	v_mul_f32_e32 v45, v45, v137                               // 00000000C970: 0A5B132D
	v_mul_f32_e32 v46, v46, v138                               // 00000000C974: 0A5D152E
	v_mul_f32_e32 v47, v47, v139                               // 00000000C978: 0A5F172F
	v_mul_f32_e64 v44, v44, s6                                 // 00000000C97C: D105002C 00000D2C
	v_mul_f32_e64 v45, v45, s6                                 // 00000000C984: D105002D 00000D2D
	v_mul_f32_e64 v46, v46, s6                                 // 00000000C98C: D105002E 00000D2E
	v_mul_f32_e64 v47, v47, s6                                 // 00000000C994: D105002F 00000D2F
	v_exp_f32_e32 v44, v44                                     // 00000000C99C: 7E58412C
	v_exp_f32_e32 v45, v45                                     // 00000000C9A0: 7E5A412D
	v_exp_f32_e32 v46, v46                                     // 00000000C9A4: 7E5C412E
	v_exp_f32_e32 v47, v47                                     // 00000000C9A8: 7E5E412F
	buffer_load_dwordx4 a[20:23], v49, s[12:15], 0 offen       // 00000000C9AC: E05C1000 80831431
	v_add_f32_e64 v44, v44, 1.0                                // 00000000C9B4: D101002C 0001E52C
	v_add_f32_e64 v45, v45, 1.0                                // 00000000C9BC: D101002D 0001E52D
	v_add_f32_e64 v46, v46, 1.0                                // 00000000C9C4: D101002E 0001E52E
	v_add_f32_e64 v47, v47, 1.0                                // 00000000C9CC: D101002F 0001E52F
	v_rcp_f32_e32 v44, v44                                     // 00000000C9D4: 7E58452C
	v_rcp_f32_e32 v45, v45                                     // 00000000C9D8: 7E5A452D
	v_rcp_f32_e32 v46, v46                                     // 00000000C9DC: 7E5C452E
	v_rcp_f32_e32 v47, v47                                     // 00000000C9E0: 7E5E452F
	v_pk_mul_f32 v[136:137], v[136:137], v[44:45]              // 00000000C9E4: D3B14088 18025988
	v_pk_mul_f32 v[138:139], v[138:139], v[46:47]              // 00000000C9EC: D3B1408A 18025D8A
	v_pk_mul_f32 v[136:137], v[136:137], v[72:73]              // 00000000C9F4: D3B14088 18029188
	v_pk_mul_f32 v[138:139], v[138:139], v[74:75]              // 00000000C9FC: D3B1408A 1802958A
	buffer_load_dwordx4 a[24:27], v50, s[12:15], 0 offen       // 00000000CA04: E05C1000 80831832
	v_mul_f32_e32 v44, v140, v140                              // 00000000CA0C: 0A59198C
	v_mul_f32_e32 v45, v141, v141                              // 00000000CA10: 0A5B1B8D
	v_mul_f32_e32 v46, v142, v142                              // 00000000CA14: 0A5D1D8E
	v_mul_f32_e32 v47, v143, v143                              // 00000000CA18: 0A5F1F8F
	v_fma_f32 v44, v44, s3, v56                                // 00000000CA1C: D1CB002C 04E0072C
	v_fma_f32 v45, v45, s3, v56                                // 00000000CA24: D1CB002D 04E0072D
	v_fma_f32 v46, v46, s3, v56                                // 00000000CA2C: D1CB002E 04E0072E
	v_fma_f32 v47, v47, s3, v56                                // 00000000CA34: D1CB002F 04E0072F
	v_mul_f32_e32 v44, v44, v140                               // 00000000CA3C: 0A59192C
	v_mul_f32_e32 v45, v45, v141                               // 00000000CA40: 0A5B1B2D
	v_mul_f32_e32 v46, v46, v142                               // 00000000CA44: 0A5D1D2E
	v_mul_f32_e32 v47, v47, v143                               // 00000000CA48: 0A5F1F2F
	v_mul_f32_e64 v44, v44, s6                                 // 00000000CA4C: D105002C 00000D2C
	v_mul_f32_e64 v45, v45, s6                                 // 00000000CA54: D105002D 00000D2D
	v_mul_f32_e64 v46, v46, s6                                 // 00000000CA5C: D105002E 00000D2E
	v_mul_f32_e64 v47, v47, s6                                 // 00000000CA64: D105002F 00000D2F
	v_exp_f32_e32 v44, v44                                     // 00000000CA6C: 7E58412C
	v_exp_f32_e32 v45, v45                                     // 00000000CA70: 7E5A412D
	v_exp_f32_e32 v46, v46                                     // 00000000CA74: 7E5C412E
	v_exp_f32_e32 v47, v47                                     // 00000000CA78: 7E5E412F
	buffer_load_dwordx4 a[28:31], v51, s[12:15], 0 offen       // 00000000CA7C: E05C1000 80831C33
	s_add_u32 s12, s78, s12                                    // 00000000CA84: 800C0C4E
	s_addc_u32 s13, 0, s13                                     // 00000000CA88: 820D0D80
	v_add_f32_e64 v44, v44, 1.0                                // 00000000CA8C: D101002C 0001E52C
	v_add_f32_e64 v45, v45, 1.0                                // 00000000CA94: D101002D 0001E52D
	v_add_f32_e64 v46, v46, 1.0                                // 00000000CA9C: D101002E 0001E52E
	v_add_f32_e64 v47, v47, 1.0                                // 00000000CAA4: D101002F 0001E52F
	v_rcp_f32_e32 v44, v44                                     // 00000000CAAC: 7E58452C
	v_rcp_f32_e32 v45, v45                                     // 00000000CAB0: 7E5A452D
	v_rcp_f32_e32 v46, v46                                     // 00000000CAB4: 7E5C452E
	v_rcp_f32_e32 v47, v47                                     // 00000000CAB8: 7E5E452F
	v_pk_mul_f32 v[140:141], v[140:141], v[44:45]              // 00000000CABC: D3B1408C 1802598C
	v_pk_mul_f32 v[142:143], v[142:143], v[46:47]              // 00000000CAC4: D3B1408E 18025D8E
	v_pk_mul_f32 v[140:141], v[140:141], v[76:77]              // 00000000CACC: D3B1408C 1802998C
	v_pk_mul_f32 v[142:143], v[142:143], v[78:79]              // 00000000CAD4: D3B1408E 18029D8E
	s_waitcnt vmcnt(28)                                        // 00000000CADC: BF8C4F7C
	buffer_load_dwordx4 a[32:35], v48, s[12:15], 0 offen       // 00000000CAE0: E05C1000 80832030
	v_mul_f32_e32 v44, v144, v144                              // 00000000CAE8: 0A592190
	v_mul_f32_e32 v45, v145, v145                              // 00000000CAEC: 0A5B2391
	v_mul_f32_e32 v46, v146, v146                              // 00000000CAF0: 0A5D2592
	v_mul_f32_e32 v47, v147, v147                              // 00000000CAF4: 0A5F2793
	v_fma_f32 v44, v44, s3, v56                                // 00000000CAF8: D1CB002C 04E0072C
	v_fma_f32 v45, v45, s3, v56                                // 00000000CB00: D1CB002D 04E0072D
	v_fma_f32 v46, v46, s3, v56                                // 00000000CB08: D1CB002E 04E0072E
	v_fma_f32 v47, v47, s3, v56                                // 00000000CB10: D1CB002F 04E0072F
	v_mul_f32_e32 v44, v44, v144                               // 00000000CB18: 0A59212C
	v_mul_f32_e32 v45, v45, v145                               // 00000000CB1C: 0A5B232D
	v_mul_f32_e32 v46, v46, v146                               // 00000000CB20: 0A5D252E
	v_mul_f32_e32 v47, v47, v147                               // 00000000CB24: 0A5F272F
	v_mul_f32_e64 v44, v44, s6                                 // 00000000CB28: D105002C 00000D2C
	v_mul_f32_e64 v45, v45, s6                                 // 00000000CB30: D105002D 00000D2D
	v_mul_f32_e64 v46, v46, s6                                 // 00000000CB38: D105002E 00000D2E
	v_mul_f32_e64 v47, v47, s6                                 // 00000000CB40: D105002F 00000D2F
	v_exp_f32_e32 v44, v44                                     // 00000000CB48: 7E58412C
	v_exp_f32_e32 v45, v45                                     // 00000000CB4C: 7E5A412D
	v_exp_f32_e32 v46, v46                                     // 00000000CB50: 7E5C412E
	v_exp_f32_e32 v47, v47                                     // 00000000CB54: 7E5E412F
	buffer_load_dwordx4 a[36:39], v49, s[12:15], 0 offen       // 00000000CB58: E05C1000 80832431
	v_add_f32_e64 v44, v44, 1.0                                // 00000000CB60: D101002C 0001E52C
	v_add_f32_e64 v45, v45, 1.0                                // 00000000CB68: D101002D 0001E52D
	v_add_f32_e64 v46, v46, 1.0                                // 00000000CB70: D101002E 0001E52E
	v_add_f32_e64 v47, v47, 1.0                                // 00000000CB78: D101002F 0001E52F
	v_rcp_f32_e32 v44, v44                                     // 00000000CB80: 7E58452C
	v_rcp_f32_e32 v45, v45                                     // 00000000CB84: 7E5A452D
	v_rcp_f32_e32 v46, v46                                     // 00000000CB88: 7E5C452E
	v_rcp_f32_e32 v47, v47                                     // 00000000CB8C: 7E5E452F
	v_pk_mul_f32 v[144:145], v[144:145], v[44:45]              // 00000000CB90: D3B14090 18025990
	v_pk_mul_f32 v[146:147], v[146:147], v[46:47]              // 00000000CB98: D3B14092 18025D92
	v_pk_mul_f32 v[144:145], v[144:145], v[80:81]              // 00000000CBA0: D3B14090 1802A190
	v_pk_mul_f32 v[146:147], v[146:147], v[82:83]              // 00000000CBA8: D3B14092 1802A592
	buffer_load_dwordx4 a[40:43], v50, s[12:15], 0 offen       // 00000000CBB0: E05C1000 80832832
	v_mul_f32_e32 v44, v148, v148                              // 00000000CBB8: 0A592994
	v_mul_f32_e32 v45, v149, v149                              // 00000000CBBC: 0A5B2B95
	v_mul_f32_e32 v46, v150, v150                              // 00000000CBC0: 0A5D2D96
	v_mul_f32_e32 v47, v151, v151                              // 00000000CBC4: 0A5F2F97
	v_fma_f32 v44, v44, s3, v56                                // 00000000CBC8: D1CB002C 04E0072C
	v_fma_f32 v45, v45, s3, v56                                // 00000000CBD0: D1CB002D 04E0072D
	v_fma_f32 v46, v46, s3, v56                                // 00000000CBD8: D1CB002E 04E0072E
	v_fma_f32 v47, v47, s3, v56                                // 00000000CBE0: D1CB002F 04E0072F
	v_mul_f32_e32 v44, v44, v148                               // 00000000CBE8: 0A59292C
	v_mul_f32_e32 v45, v45, v149                               // 00000000CBEC: 0A5B2B2D
	v_mul_f32_e32 v46, v46, v150                               // 00000000CBF0: 0A5D2D2E
	v_mul_f32_e32 v47, v47, v151                               // 00000000CBF4: 0A5F2F2F
	v_mul_f32_e64 v44, v44, s6                                 // 00000000CBF8: D105002C 00000D2C
	v_mul_f32_e64 v45, v45, s6                                 // 00000000CC00: D105002D 00000D2D
	v_mul_f32_e64 v46, v46, s6                                 // 00000000CC08: D105002E 00000D2E
	v_mul_f32_e64 v47, v47, s6                                 // 00000000CC10: D105002F 00000D2F
	v_exp_f32_e32 v44, v44                                     // 00000000CC18: 7E58412C
	v_exp_f32_e32 v45, v45                                     // 00000000CC1C: 7E5A412D
	v_exp_f32_e32 v46, v46                                     // 00000000CC20: 7E5C412E
	v_exp_f32_e32 v47, v47                                     // 00000000CC24: 7E5E412F
	buffer_load_dwordx4 a[44:47], v51, s[12:15], 0 offen       // 00000000CC28: E05C1000 80832C33
	s_add_u32 s12, s78, s12                                    // 00000000CC30: 800C0C4E
	s_addc_u32 s13, 0, s13                                     // 00000000CC34: 820D0D80
	v_add_f32_e64 v44, v44, 1.0                                // 00000000CC38: D101002C 0001E52C
	v_add_f32_e64 v45, v45, 1.0                                // 00000000CC40: D101002D 0001E52D
	v_add_f32_e64 v46, v46, 1.0                                // 00000000CC48: D101002E 0001E52E
	v_add_f32_e64 v47, v47, 1.0                                // 00000000CC50: D101002F 0001E52F
	v_rcp_f32_e32 v44, v44                                     // 00000000CC58: 7E58452C
	v_rcp_f32_e32 v45, v45                                     // 00000000CC5C: 7E5A452D
	v_rcp_f32_e32 v46, v46                                     // 00000000CC60: 7E5C452E
	v_rcp_f32_e32 v47, v47                                     // 00000000CC64: 7E5E452F
	v_pk_mul_f32 v[148:149], v[148:149], v[44:45]              // 00000000CC68: D3B14094 18025994
	v_pk_mul_f32 v[150:151], v[150:151], v[46:47]              // 00000000CC70: D3B14096 18025D96
	v_pk_mul_f32 v[148:149], v[148:149], v[84:85]              // 00000000CC78: D3B14094 1802A994
	v_pk_mul_f32 v[150:151], v[150:151], v[86:87]              // 00000000CC80: D3B14096 1802AD96
	s_waitcnt vmcnt(28)                                        // 00000000CC88: BF8C4F7C
	buffer_load_dwordx4 a[48:51], v48, s[12:15], 0 offen       // 00000000CC8C: E05C1000 80833030
	v_mul_f32_e32 v44, v152, v152                              // 00000000CC94: 0A593198
	v_mul_f32_e32 v45, v153, v153                              // 00000000CC98: 0A5B3399
	v_mul_f32_e32 v46, v154, v154                              // 00000000CC9C: 0A5D359A
	v_mul_f32_e32 v47, v155, v155                              // 00000000CCA0: 0A5F379B
	v_fma_f32 v44, v44, s3, v56                                // 00000000CCA4: D1CB002C 04E0072C
	v_fma_f32 v45, v45, s3, v56                                // 00000000CCAC: D1CB002D 04E0072D
	v_fma_f32 v46, v46, s3, v56                                // 00000000CCB4: D1CB002E 04E0072E
	v_fma_f32 v47, v47, s3, v56                                // 00000000CCBC: D1CB002F 04E0072F
	v_mul_f32_e32 v44, v44, v152                               // 00000000CCC4: 0A59312C
	v_mul_f32_e32 v45, v45, v153                               // 00000000CCC8: 0A5B332D
	v_mul_f32_e32 v46, v46, v154                               // 00000000CCCC: 0A5D352E
	v_mul_f32_e32 v47, v47, v155                               // 00000000CCD0: 0A5F372F
	v_mul_f32_e64 v44, v44, s6                                 // 00000000CCD4: D105002C 00000D2C
	v_mul_f32_e64 v45, v45, s6                                 // 00000000CCDC: D105002D 00000D2D
	v_mul_f32_e64 v46, v46, s6                                 // 00000000CCE4: D105002E 00000D2E
	v_mul_f32_e64 v47, v47, s6                                 // 00000000CCEC: D105002F 00000D2F
	v_exp_f32_e32 v44, v44                                     // 00000000CCF4: 7E58412C
	v_exp_f32_e32 v45, v45                                     // 00000000CCF8: 7E5A412D
	v_exp_f32_e32 v46, v46                                     // 00000000CCFC: 7E5C412E
	v_exp_f32_e32 v47, v47                                     // 00000000CD00: 7E5E412F
	buffer_load_dwordx4 a[52:55], v49, s[12:15], 0 offen       // 00000000CD04: E05C1000 80833431
	v_add_f32_e64 v44, v44, 1.0                                // 00000000CD0C: D101002C 0001E52C
	v_add_f32_e64 v45, v45, 1.0                                // 00000000CD14: D101002D 0001E52D
	v_add_f32_e64 v46, v46, 1.0                                // 00000000CD1C: D101002E 0001E52E
	v_add_f32_e64 v47, v47, 1.0                                // 00000000CD24: D101002F 0001E52F
	v_rcp_f32_e32 v44, v44                                     // 00000000CD2C: 7E58452C
	v_rcp_f32_e32 v45, v45                                     // 00000000CD30: 7E5A452D
	v_rcp_f32_e32 v46, v46                                     // 00000000CD34: 7E5C452E
	v_rcp_f32_e32 v47, v47                                     // 00000000CD38: 7E5E452F
	v_pk_mul_f32 v[152:153], v[152:153], v[44:45]              // 00000000CD3C: D3B14098 18025998
	v_pk_mul_f32 v[154:155], v[154:155], v[46:47]              // 00000000CD44: D3B1409A 18025D9A
	v_pk_mul_f32 v[152:153], v[152:153], v[88:89]              // 00000000CD4C: D3B14098 1802B198
	v_pk_mul_f32 v[154:155], v[154:155], v[90:91]              // 00000000CD54: D3B1409A 1802B59A
	buffer_load_dwordx4 a[56:59], v50, s[12:15], 0 offen       // 00000000CD5C: E05C1000 80833832
	v_mul_f32_e32 v44, v156, v156                              // 00000000CD64: 0A59399C
	v_mul_f32_e32 v45, v157, v157                              // 00000000CD68: 0A5B3B9D
	v_mul_f32_e32 v46, v158, v158                              // 00000000CD6C: 0A5D3D9E
	v_mul_f32_e32 v47, v159, v159                              // 00000000CD70: 0A5F3F9F
	v_fma_f32 v44, v44, s3, v56                                // 00000000CD74: D1CB002C 04E0072C
	v_fma_f32 v45, v45, s3, v56                                // 00000000CD7C: D1CB002D 04E0072D
	v_fma_f32 v46, v46, s3, v56                                // 00000000CD84: D1CB002E 04E0072E
	v_fma_f32 v47, v47, s3, v56                                // 00000000CD8C: D1CB002F 04E0072F
	v_mul_f32_e32 v44, v44, v156                               // 00000000CD94: 0A59392C
	v_mul_f32_e32 v45, v45, v157                               // 00000000CD98: 0A5B3B2D
	v_mul_f32_e32 v46, v46, v158                               // 00000000CD9C: 0A5D3D2E
	v_mul_f32_e32 v47, v47, v159                               // 00000000CDA0: 0A5F3F2F
	v_mul_f32_e64 v44, v44, s6                                 // 00000000CDA4: D105002C 00000D2C
	v_mul_f32_e64 v45, v45, s6                                 // 00000000CDAC: D105002D 00000D2D
	v_mul_f32_e64 v46, v46, s6                                 // 00000000CDB4: D105002E 00000D2E
	v_mul_f32_e64 v47, v47, s6                                 // 00000000CDBC: D105002F 00000D2F
	v_exp_f32_e32 v44, v44                                     // 00000000CDC4: 7E58412C
	v_exp_f32_e32 v45, v45                                     // 00000000CDC8: 7E5A412D
	v_exp_f32_e32 v46, v46                                     // 00000000CDCC: 7E5C412E
	v_exp_f32_e32 v47, v47                                     // 00000000CDD0: 7E5E412F
	buffer_load_dwordx4 a[60:63], v51, s[12:15], 0 offen       // 00000000CDD4: E05C1000 80833C33
	s_add_u32 s12, s78, s12                                    // 00000000CDDC: 800C0C4E
	s_addc_u32 s13, 0, s13                                     // 00000000CDE0: 820D0D80
	v_add_f32_e64 v44, v44, 1.0                                // 00000000CDE4: D101002C 0001E52C
	v_add_f32_e64 v45, v45, 1.0                                // 00000000CDEC: D101002D 0001E52D
	v_add_f32_e64 v46, v46, 1.0                                // 00000000CDF4: D101002E 0001E52E
	v_add_f32_e64 v47, v47, 1.0                                // 00000000CDFC: D101002F 0001E52F
	v_rcp_f32_e32 v44, v44                                     // 00000000CE04: 7E58452C
	v_rcp_f32_e32 v45, v45                                     // 00000000CE08: 7E5A452D
	v_rcp_f32_e32 v46, v46                                     // 00000000CE0C: 7E5C452E
	v_rcp_f32_e32 v47, v47                                     // 00000000CE10: 7E5E452F
	v_pk_mul_f32 v[156:157], v[156:157], v[44:45]              // 00000000CE14: D3B1409C 1802599C
	v_pk_mul_f32 v[158:159], v[158:159], v[46:47]              // 00000000CE1C: D3B1409E 18025D9E
	v_pk_mul_f32 v[156:157], v[156:157], v[92:93]              // 00000000CE24: D3B1409C 1802B99C
	v_pk_mul_f32 v[158:159], v[158:159], v[94:95]              // 00000000CE2C: D3B1409E 1802BD9E
	s_waitcnt vmcnt(28)                                        // 00000000CE34: BF8C4F7C
	buffer_load_dwordx4 a[64:67], v48, s[12:15], 0 offen       // 00000000CE38: E05C1000 80834030
	v_mul_f32_e32 v44, v160, v160                              // 00000000CE40: 0A5941A0
	v_mul_f32_e32 v45, v161, v161                              // 00000000CE44: 0A5B43A1
	v_mul_f32_e32 v46, v162, v162                              // 00000000CE48: 0A5D45A2
	v_mul_f32_e32 v47, v163, v163                              // 00000000CE4C: 0A5F47A3
	v_fma_f32 v44, v44, s3, v56                                // 00000000CE50: D1CB002C 04E0072C
	v_fma_f32 v45, v45, s3, v56                                // 00000000CE58: D1CB002D 04E0072D
	v_fma_f32 v46, v46, s3, v56                                // 00000000CE60: D1CB002E 04E0072E
	v_fma_f32 v47, v47, s3, v56                                // 00000000CE68: D1CB002F 04E0072F
	v_mul_f32_e32 v44, v44, v160                               // 00000000CE70: 0A59412C
	v_mul_f32_e32 v45, v45, v161                               // 00000000CE74: 0A5B432D
	v_mul_f32_e32 v46, v46, v162                               // 00000000CE78: 0A5D452E
	v_mul_f32_e32 v47, v47, v163                               // 00000000CE7C: 0A5F472F
	v_mul_f32_e64 v44, v44, s6                                 // 00000000CE80: D105002C 00000D2C
	v_mul_f32_e64 v45, v45, s6                                 // 00000000CE88: D105002D 00000D2D
	v_mul_f32_e64 v46, v46, s6                                 // 00000000CE90: D105002E 00000D2E
	v_mul_f32_e64 v47, v47, s6                                 // 00000000CE98: D105002F 00000D2F
	v_exp_f32_e32 v44, v44                                     // 00000000CEA0: 7E58412C
	v_exp_f32_e32 v45, v45                                     // 00000000CEA4: 7E5A412D
	v_exp_f32_e32 v46, v46                                     // 00000000CEA8: 7E5C412E
	v_exp_f32_e32 v47, v47                                     // 00000000CEAC: 7E5E412F
	buffer_load_dwordx4 a[68:71], v49, s[12:15], 0 offen       // 00000000CEB0: E05C1000 80834431
	v_add_f32_e64 v44, v44, 1.0                                // 00000000CEB8: D101002C 0001E52C
	v_add_f32_e64 v45, v45, 1.0                                // 00000000CEC0: D101002D 0001E52D
	v_add_f32_e64 v46, v46, 1.0                                // 00000000CEC8: D101002E 0001E52E
	v_add_f32_e64 v47, v47, 1.0                                // 00000000CED0: D101002F 0001E52F
	v_rcp_f32_e32 v44, v44                                     // 00000000CED8: 7E58452C
	v_rcp_f32_e32 v45, v45                                     // 00000000CEDC: 7E5A452D
	v_rcp_f32_e32 v46, v46                                     // 00000000CEE0: 7E5C452E
	v_rcp_f32_e32 v47, v47                                     // 00000000CEE4: 7E5E452F
	v_pk_mul_f32 v[160:161], v[160:161], v[44:45]              // 00000000CEE8: D3B140A0 180259A0
	v_pk_mul_f32 v[162:163], v[162:163], v[46:47]              // 00000000CEF0: D3B140A2 18025DA2
	v_pk_mul_f32 v[160:161], v[160:161], v[96:97]              // 00000000CEF8: D3B140A0 1802C1A0
	v_pk_mul_f32 v[162:163], v[162:163], v[98:99]              // 00000000CF00: D3B140A2 1802C5A2
	buffer_load_dwordx4 a[72:75], v50, s[12:15], 0 offen       // 00000000CF08: E05C1000 80834832
	v_mul_f32_e32 v44, v164, v164                              // 00000000CF10: 0A5949A4
	v_mul_f32_e32 v45, v165, v165                              // 00000000CF14: 0A5B4BA5
	v_mul_f32_e32 v46, v166, v166                              // 00000000CF18: 0A5D4DA6
	v_mul_f32_e32 v47, v167, v167                              // 00000000CF1C: 0A5F4FA7
	v_fma_f32 v44, v44, s3, v56                                // 00000000CF20: D1CB002C 04E0072C
	v_fma_f32 v45, v45, s3, v56                                // 00000000CF28: D1CB002D 04E0072D
	v_fma_f32 v46, v46, s3, v56                                // 00000000CF30: D1CB002E 04E0072E
	v_fma_f32 v47, v47, s3, v56                                // 00000000CF38: D1CB002F 04E0072F
	v_mul_f32_e32 v44, v44, v164                               // 00000000CF40: 0A59492C
	v_mul_f32_e32 v45, v45, v165                               // 00000000CF44: 0A5B4B2D
	v_mul_f32_e32 v46, v46, v166                               // 00000000CF48: 0A5D4D2E
	v_mul_f32_e32 v47, v47, v167                               // 00000000CF4C: 0A5F4F2F
	v_mul_f32_e64 v44, v44, s6                                 // 00000000CF50: D105002C 00000D2C
	v_mul_f32_e64 v45, v45, s6                                 // 00000000CF58: D105002D 00000D2D
	v_mul_f32_e64 v46, v46, s6                                 // 00000000CF60: D105002E 00000D2E
	v_mul_f32_e64 v47, v47, s6                                 // 00000000CF68: D105002F 00000D2F
	v_exp_f32_e32 v44, v44                                     // 00000000CF70: 7E58412C
	v_exp_f32_e32 v45, v45                                     // 00000000CF74: 7E5A412D
	v_exp_f32_e32 v46, v46                                     // 00000000CF78: 7E5C412E
	v_exp_f32_e32 v47, v47                                     // 00000000CF7C: 7E5E412F
	buffer_load_dwordx4 a[76:79], v51, s[12:15], 0 offen       // 00000000CF80: E05C1000 80834C33
	s_add_u32 s12, s78, s12                                    // 00000000CF88: 800C0C4E
	s_addc_u32 s13, 0, s13                                     // 00000000CF8C: 820D0D80
	v_add_f32_e64 v44, v44, 1.0                                // 00000000CF90: D101002C 0001E52C
	v_add_f32_e64 v45, v45, 1.0                                // 00000000CF98: D101002D 0001E52D
	v_add_f32_e64 v46, v46, 1.0                                // 00000000CFA0: D101002E 0001E52E
	v_add_f32_e64 v47, v47, 1.0                                // 00000000CFA8: D101002F 0001E52F
	v_rcp_f32_e32 v44, v44                                     // 00000000CFB0: 7E58452C
	v_rcp_f32_e32 v45, v45                                     // 00000000CFB4: 7E5A452D
	v_rcp_f32_e32 v46, v46                                     // 00000000CFB8: 7E5C452E
	v_rcp_f32_e32 v47, v47                                     // 00000000CFBC: 7E5E452F
	v_pk_mul_f32 v[164:165], v[164:165], v[44:45]              // 00000000CFC0: D3B140A4 180259A4
	v_pk_mul_f32 v[166:167], v[166:167], v[46:47]              // 00000000CFC8: D3B140A6 18025DA6
	v_pk_mul_f32 v[164:165], v[164:165], v[100:101]            // 00000000CFD0: D3B140A4 1802C9A4
	v_pk_mul_f32 v[166:167], v[166:167], v[102:103]            // 00000000CFD8: D3B140A6 1802CDA6
	s_waitcnt vmcnt(28)                                        // 00000000CFE0: BF8C4F7C
	buffer_load_dwordx4 a[80:83], v48, s[12:15], 0 offen       // 00000000CFE4: E05C1000 80835030
	v_mul_f32_e32 v44, v168, v168                              // 00000000CFEC: 0A5951A8
	v_mul_f32_e32 v45, v169, v169                              // 00000000CFF0: 0A5B53A9
	v_mul_f32_e32 v46, v170, v170                              // 00000000CFF4: 0A5D55AA
	v_mul_f32_e32 v47, v171, v171                              // 00000000CFF8: 0A5F57AB
	v_fma_f32 v44, v44, s3, v56                                // 00000000CFFC: D1CB002C 04E0072C
	v_fma_f32 v45, v45, s3, v56                                // 00000000D004: D1CB002D 04E0072D
	v_fma_f32 v46, v46, s3, v56                                // 00000000D00C: D1CB002E 04E0072E
	v_fma_f32 v47, v47, s3, v56                                // 00000000D014: D1CB002F 04E0072F
	v_mul_f32_e32 v44, v44, v168                               // 00000000D01C: 0A59512C
	v_mul_f32_e32 v45, v45, v169                               // 00000000D020: 0A5B532D
	v_mul_f32_e32 v46, v46, v170                               // 00000000D024: 0A5D552E
	v_mul_f32_e32 v47, v47, v171                               // 00000000D028: 0A5F572F
	v_mul_f32_e64 v44, v44, s6                                 // 00000000D02C: D105002C 00000D2C
	v_mul_f32_e64 v45, v45, s6                                 // 00000000D034: D105002D 00000D2D
	v_mul_f32_e64 v46, v46, s6                                 // 00000000D03C: D105002E 00000D2E
	v_mul_f32_e64 v47, v47, s6                                 // 00000000D044: D105002F 00000D2F
	v_exp_f32_e32 v44, v44                                     // 00000000D04C: 7E58412C
	v_exp_f32_e32 v45, v45                                     // 00000000D050: 7E5A412D
	v_exp_f32_e32 v46, v46                                     // 00000000D054: 7E5C412E
	v_exp_f32_e32 v47, v47                                     // 00000000D058: 7E5E412F
	buffer_load_dwordx4 a[84:87], v49, s[12:15], 0 offen       // 00000000D05C: E05C1000 80835431
	v_add_f32_e64 v44, v44, 1.0                                // 00000000D064: D101002C 0001E52C
	v_add_f32_e64 v45, v45, 1.0                                // 00000000D06C: D101002D 0001E52D
	v_add_f32_e64 v46, v46, 1.0                                // 00000000D074: D101002E 0001E52E
	v_add_f32_e64 v47, v47, 1.0                                // 00000000D07C: D101002F 0001E52F
	v_rcp_f32_e32 v44, v44                                     // 00000000D084: 7E58452C
	v_rcp_f32_e32 v45, v45                                     // 00000000D088: 7E5A452D
	v_rcp_f32_e32 v46, v46                                     // 00000000D08C: 7E5C452E
	v_rcp_f32_e32 v47, v47                                     // 00000000D090: 7E5E452F
	v_pk_mul_f32 v[168:169], v[168:169], v[44:45]              // 00000000D094: D3B140A8 180259A8
	v_pk_mul_f32 v[170:171], v[170:171], v[46:47]              // 00000000D09C: D3B140AA 18025DAA
	v_pk_mul_f32 v[168:169], v[168:169], v[104:105]            // 00000000D0A4: D3B140A8 1802D1A8
	v_pk_mul_f32 v[170:171], v[170:171], v[106:107]            // 00000000D0AC: D3B140AA 1802D5AA
	buffer_load_dwordx4 a[88:91], v50, s[12:15], 0 offen       // 00000000D0B4: E05C1000 80835832
	v_mul_f32_e32 v44, v172, v172                              // 00000000D0BC: 0A5959AC
	v_mul_f32_e32 v45, v173, v173                              // 00000000D0C0: 0A5B5BAD
	v_mul_f32_e32 v46, v174, v174                              // 00000000D0C4: 0A5D5DAE
	v_mul_f32_e32 v47, v175, v175                              // 00000000D0C8: 0A5F5FAF
	v_fma_f32 v44, v44, s3, v56                                // 00000000D0CC: D1CB002C 04E0072C
	v_fma_f32 v45, v45, s3, v56                                // 00000000D0D4: D1CB002D 04E0072D
	v_fma_f32 v46, v46, s3, v56                                // 00000000D0DC: D1CB002E 04E0072E
	v_fma_f32 v47, v47, s3, v56                                // 00000000D0E4: D1CB002F 04E0072F
	v_mul_f32_e32 v44, v44, v172                               // 00000000D0EC: 0A59592C
	v_mul_f32_e32 v45, v45, v173                               // 00000000D0F0: 0A5B5B2D
	v_mul_f32_e32 v46, v46, v174                               // 00000000D0F4: 0A5D5D2E
	v_mul_f32_e32 v47, v47, v175                               // 00000000D0F8: 0A5F5F2F
	v_mul_f32_e64 v44, v44, s6                                 // 00000000D0FC: D105002C 00000D2C
	v_mul_f32_e64 v45, v45, s6                                 // 00000000D104: D105002D 00000D2D
	v_mul_f32_e64 v46, v46, s6                                 // 00000000D10C: D105002E 00000D2E
	v_mul_f32_e64 v47, v47, s6                                 // 00000000D114: D105002F 00000D2F
	v_exp_f32_e32 v44, v44                                     // 00000000D11C: 7E58412C
	v_exp_f32_e32 v45, v45                                     // 00000000D120: 7E5A412D
	v_exp_f32_e32 v46, v46                                     // 00000000D124: 7E5C412E
	v_exp_f32_e32 v47, v47                                     // 00000000D128: 7E5E412F
	buffer_load_dwordx4 a[92:95], v51, s[12:15], 0 offen       // 00000000D12C: E05C1000 80835C33
	s_add_u32 s12, s78, s12                                    // 00000000D134: 800C0C4E
	s_addc_u32 s13, 0, s13                                     // 00000000D138: 820D0D80
	v_add_f32_e64 v44, v44, 1.0                                // 00000000D13C: D101002C 0001E52C
	v_add_f32_e64 v45, v45, 1.0                                // 00000000D144: D101002D 0001E52D
	v_add_f32_e64 v46, v46, 1.0                                // 00000000D14C: D101002E 0001E52E
	v_add_f32_e64 v47, v47, 1.0                                // 00000000D154: D101002F 0001E52F
	v_rcp_f32_e32 v44, v44                                     // 00000000D15C: 7E58452C
	v_rcp_f32_e32 v45, v45                                     // 00000000D160: 7E5A452D
	v_rcp_f32_e32 v46, v46                                     // 00000000D164: 7E5C452E
	v_rcp_f32_e32 v47, v47                                     // 00000000D168: 7E5E452F
	v_pk_mul_f32 v[172:173], v[172:173], v[44:45]              // 00000000D16C: D3B140AC 180259AC
	v_pk_mul_f32 v[174:175], v[174:175], v[46:47]              // 00000000D174: D3B140AE 18025DAE
	v_pk_mul_f32 v[172:173], v[172:173], v[108:109]            // 00000000D17C: D3B140AC 1802D9AC
	v_pk_mul_f32 v[174:175], v[174:175], v[110:111]            // 00000000D184: D3B140AE 1802DDAE
	s_waitcnt vmcnt(28)                                        // 00000000D18C: BF8C4F7C
	buffer_load_dwordx4 a[96:99], v48, s[12:15], 0 offen       // 00000000D190: E05C1000 80836030
	v_mul_f32_e32 v44, v176, v176                              // 00000000D198: 0A5961B0
	v_mul_f32_e32 v45, v177, v177                              // 00000000D19C: 0A5B63B1
	v_mul_f32_e32 v46, v178, v178                              // 00000000D1A0: 0A5D65B2
	v_mul_f32_e32 v47, v179, v179                              // 00000000D1A4: 0A5F67B3
	v_fma_f32 v44, v44, s3, v56                                // 00000000D1A8: D1CB002C 04E0072C
	v_fma_f32 v45, v45, s3, v56                                // 00000000D1B0: D1CB002D 04E0072D
	v_fma_f32 v46, v46, s3, v56                                // 00000000D1B8: D1CB002E 04E0072E
	v_fma_f32 v47, v47, s3, v56                                // 00000000D1C0: D1CB002F 04E0072F
	v_mul_f32_e32 v44, v44, v176                               // 00000000D1C8: 0A59612C
	v_mul_f32_e32 v45, v45, v177                               // 00000000D1CC: 0A5B632D
	v_mul_f32_e32 v46, v46, v178                               // 00000000D1D0: 0A5D652E
	v_mul_f32_e32 v47, v47, v179                               // 00000000D1D4: 0A5F672F
	v_mul_f32_e64 v44, v44, s6                                 // 00000000D1D8: D105002C 00000D2C
	v_mul_f32_e64 v45, v45, s6                                 // 00000000D1E0: D105002D 00000D2D
	v_mul_f32_e64 v46, v46, s6                                 // 00000000D1E8: D105002E 00000D2E
	v_mul_f32_e64 v47, v47, s6                                 // 00000000D1F0: D105002F 00000D2F
	v_exp_f32_e32 v44, v44                                     // 00000000D1F8: 7E58412C
	v_exp_f32_e32 v45, v45                                     // 00000000D1FC: 7E5A412D
	v_exp_f32_e32 v46, v46                                     // 00000000D200: 7E5C412E
	v_exp_f32_e32 v47, v47                                     // 00000000D204: 7E5E412F
	buffer_load_dwordx4 a[100:103], v49, s[12:15], 0 offen     // 00000000D208: E05C1000 80836431
	v_add_f32_e64 v44, v44, 1.0                                // 00000000D210: D101002C 0001E52C
	v_add_f32_e64 v45, v45, 1.0                                // 00000000D218: D101002D 0001E52D
	v_add_f32_e64 v46, v46, 1.0                                // 00000000D220: D101002E 0001E52E
	v_add_f32_e64 v47, v47, 1.0                                // 00000000D228: D101002F 0001E52F
	v_rcp_f32_e32 v44, v44                                     // 00000000D230: 7E58452C
	v_rcp_f32_e32 v45, v45                                     // 00000000D234: 7E5A452D
	v_rcp_f32_e32 v46, v46                                     // 00000000D238: 7E5C452E
	v_rcp_f32_e32 v47, v47                                     // 00000000D23C: 7E5E452F
	v_pk_mul_f32 v[176:177], v[176:177], v[44:45]              // 00000000D240: D3B140B0 180259B0
	v_pk_mul_f32 v[178:179], v[178:179], v[46:47]              // 00000000D248: D3B140B2 18025DB2
	v_pk_mul_f32 v[176:177], v[176:177], v[112:113]            // 00000000D250: D3B140B0 1802E1B0
	v_pk_mul_f32 v[178:179], v[178:179], v[114:115]            // 00000000D258: D3B140B2 1802E5B2
	buffer_load_dwordx4 a[104:107], v50, s[12:15], 0 offen     // 00000000D260: E05C1000 80836832
	v_mul_f32_e32 v44, v180, v180                              // 00000000D268: 0A5969B4
	v_mul_f32_e32 v45, v181, v181                              // 00000000D26C: 0A5B6BB5
	v_mul_f32_e32 v46, v182, v182                              // 00000000D270: 0A5D6DB6
	v_mul_f32_e32 v47, v183, v183                              // 00000000D274: 0A5F6FB7
	v_fma_f32 v44, v44, s3, v56                                // 00000000D278: D1CB002C 04E0072C
	v_fma_f32 v45, v45, s3, v56                                // 00000000D280: D1CB002D 04E0072D
	v_fma_f32 v46, v46, s3, v56                                // 00000000D288: D1CB002E 04E0072E
	v_fma_f32 v47, v47, s3, v56                                // 00000000D290: D1CB002F 04E0072F
	v_mul_f32_e32 v44, v44, v180                               // 00000000D298: 0A59692C
	v_mul_f32_e32 v45, v45, v181                               // 00000000D29C: 0A5B6B2D
	v_mul_f32_e32 v46, v46, v182                               // 00000000D2A0: 0A5D6D2E
	v_mul_f32_e32 v47, v47, v183                               // 00000000D2A4: 0A5F6F2F
	v_mul_f32_e64 v44, v44, s6                                 // 00000000D2A8: D105002C 00000D2C
	v_mul_f32_e64 v45, v45, s6                                 // 00000000D2B0: D105002D 00000D2D
	v_mul_f32_e64 v46, v46, s6                                 // 00000000D2B8: D105002E 00000D2E
	v_mul_f32_e64 v47, v47, s6                                 // 00000000D2C0: D105002F 00000D2F
	v_exp_f32_e32 v44, v44                                     // 00000000D2C8: 7E58412C
	v_exp_f32_e32 v45, v45                                     // 00000000D2CC: 7E5A412D
	v_exp_f32_e32 v46, v46                                     // 00000000D2D0: 7E5C412E
	v_exp_f32_e32 v47, v47                                     // 00000000D2D4: 7E5E412F
	buffer_load_dwordx4 a[108:111], v51, s[12:15], 0 offen     // 00000000D2D8: E05C1000 80836C33
	s_add_u32 s12, s78, s12                                    // 00000000D2E0: 800C0C4E
	s_addc_u32 s13, 0, s13                                     // 00000000D2E4: 820D0D80
	v_add_f32_e64 v44, v44, 1.0                                // 00000000D2E8: D101002C 0001E52C
	v_add_f32_e64 v45, v45, 1.0                                // 00000000D2F0: D101002D 0001E52D
	v_add_f32_e64 v46, v46, 1.0                                // 00000000D2F8: D101002E 0001E52E
	v_add_f32_e64 v47, v47, 1.0                                // 00000000D300: D101002F 0001E52F
	v_rcp_f32_e32 v44, v44                                     // 00000000D308: 7E58452C
	v_rcp_f32_e32 v45, v45                                     // 00000000D30C: 7E5A452D
	v_rcp_f32_e32 v46, v46                                     // 00000000D310: 7E5C452E
	v_rcp_f32_e32 v47, v47                                     // 00000000D314: 7E5E452F
	v_pk_mul_f32 v[180:181], v[180:181], v[44:45]              // 00000000D318: D3B140B4 180259B4
	v_pk_mul_f32 v[182:183], v[182:183], v[46:47]              // 00000000D320: D3B140B6 18025DB6
	v_pk_mul_f32 v[180:181], v[180:181], v[116:117]            // 00000000D328: D3B140B4 1802E9B4
	v_pk_mul_f32 v[182:183], v[182:183], v[118:119]            // 00000000D330: D3B140B6 1802EDB6
	s_waitcnt vmcnt(28)                                        // 00000000D338: BF8C4F7C
	buffer_load_dwordx4 a[112:115], v48, s[12:15], 0 offen     // 00000000D33C: E05C1000 80837030
	v_mul_f32_e32 v44, v184, v184                              // 00000000D344: 0A5971B8
	v_mul_f32_e32 v45, v185, v185                              // 00000000D348: 0A5B73B9
	v_mul_f32_e32 v46, v186, v186                              // 00000000D34C: 0A5D75BA
	v_mul_f32_e32 v47, v187, v187                              // 00000000D350: 0A5F77BB
	v_fma_f32 v44, v44, s3, v56                                // 00000000D354: D1CB002C 04E0072C
	v_fma_f32 v45, v45, s3, v56                                // 00000000D35C: D1CB002D 04E0072D
	v_fma_f32 v46, v46, s3, v56                                // 00000000D364: D1CB002E 04E0072E
	v_fma_f32 v47, v47, s3, v56                                // 00000000D36C: D1CB002F 04E0072F
	v_mul_f32_e32 v44, v44, v184                               // 00000000D374: 0A59712C
	v_mul_f32_e32 v45, v45, v185                               // 00000000D378: 0A5B732D
	v_mul_f32_e32 v46, v46, v186                               // 00000000D37C: 0A5D752E
	v_mul_f32_e32 v47, v47, v187                               // 00000000D380: 0A5F772F
	v_mul_f32_e64 v44, v44, s6                                 // 00000000D384: D105002C 00000D2C
	v_mul_f32_e64 v45, v45, s6                                 // 00000000D38C: D105002D 00000D2D
	v_mul_f32_e64 v46, v46, s6                                 // 00000000D394: D105002E 00000D2E
	v_mul_f32_e64 v47, v47, s6                                 // 00000000D39C: D105002F 00000D2F
	v_exp_f32_e32 v44, v44                                     // 00000000D3A4: 7E58412C
	v_exp_f32_e32 v45, v45                                     // 00000000D3A8: 7E5A412D
	v_exp_f32_e32 v46, v46                                     // 00000000D3AC: 7E5C412E
	v_exp_f32_e32 v47, v47                                     // 00000000D3B0: 7E5E412F
	buffer_load_dwordx4 a[116:119], v49, s[12:15], 0 offen     // 00000000D3B4: E05C1000 80837431
	v_add_f32_e64 v44, v44, 1.0                                // 00000000D3BC: D101002C 0001E52C
	v_add_f32_e64 v45, v45, 1.0                                // 00000000D3C4: D101002D 0001E52D
	v_add_f32_e64 v46, v46, 1.0                                // 00000000D3CC: D101002E 0001E52E
	v_add_f32_e64 v47, v47, 1.0                                // 00000000D3D4: D101002F 0001E52F
	v_rcp_f32_e32 v44, v44                                     // 00000000D3DC: 7E58452C
	v_rcp_f32_e32 v45, v45                                     // 00000000D3E0: 7E5A452D
	v_rcp_f32_e32 v46, v46                                     // 00000000D3E4: 7E5C452E
	v_rcp_f32_e32 v47, v47                                     // 00000000D3E8: 7E5E452F
	v_pk_mul_f32 v[184:185], v[184:185], v[44:45]              // 00000000D3EC: D3B140B8 180259B8
	v_pk_mul_f32 v[186:187], v[186:187], v[46:47]              // 00000000D3F4: D3B140BA 18025DBA
	v_pk_mul_f32 v[184:185], v[184:185], v[120:121]            // 00000000D3FC: D3B140B8 1802F1B8
	v_pk_mul_f32 v[186:187], v[186:187], v[122:123]            // 00000000D404: D3B140BA 1802F5BA
	buffer_load_dwordx4 a[120:123], v50, s[12:15], 0 offen     // 00000000D40C: E05C1000 80837832
	v_mul_f32_e32 v44, v188, v188                              // 00000000D414: 0A5979BC
	v_mul_f32_e32 v45, v189, v189                              // 00000000D418: 0A5B7BBD
	v_mul_f32_e32 v46, v190, v190                              // 00000000D41C: 0A5D7DBE
	v_mul_f32_e32 v47, v191, v191                              // 00000000D420: 0A5F7FBF
	v_fma_f32 v44, v44, s3, v56                                // 00000000D424: D1CB002C 04E0072C
	v_fma_f32 v45, v45, s3, v56                                // 00000000D42C: D1CB002D 04E0072D
	v_fma_f32 v46, v46, s3, v56                                // 00000000D434: D1CB002E 04E0072E
	v_fma_f32 v47, v47, s3, v56                                // 00000000D43C: D1CB002F 04E0072F
	v_mul_f32_e32 v44, v44, v188                               // 00000000D444: 0A59792C
	v_mul_f32_e32 v45, v45, v189                               // 00000000D448: 0A5B7B2D
	v_mul_f32_e32 v46, v46, v190                               // 00000000D44C: 0A5D7D2E
	v_mul_f32_e32 v47, v47, v191                               // 00000000D450: 0A5F7F2F
	v_mul_f32_e64 v44, v44, s6                                 // 00000000D454: D105002C 00000D2C
	v_mul_f32_e64 v45, v45, s6                                 // 00000000D45C: D105002D 00000D2D
	v_mul_f32_e64 v46, v46, s6                                 // 00000000D464: D105002E 00000D2E
	v_mul_f32_e64 v47, v47, s6                                 // 00000000D46C: D105002F 00000D2F
	v_exp_f32_e32 v44, v44                                     // 00000000D474: 7E58412C
	v_exp_f32_e32 v45, v45                                     // 00000000D478: 7E5A412D
	v_exp_f32_e32 v46, v46                                     // 00000000D47C: 7E5C412E
	v_exp_f32_e32 v47, v47                                     // 00000000D480: 7E5E412F
	buffer_load_dwordx4 a[124:127], v51, s[12:15], 0 offen     // 00000000D484: E05C1000 80837C33
	v_add_f32_e64 v44, v44, 1.0                                // 00000000D48C: D101002C 0001E52C
	v_add_f32_e64 v45, v45, 1.0                                // 00000000D494: D101002D 0001E52D
	v_add_f32_e64 v46, v46, 1.0                                // 00000000D49C: D101002E 0001E52E
	v_add_f32_e64 v47, v47, 1.0                                // 00000000D4A4: D101002F 0001E52F
	v_rcp_f32_e32 v44, v44                                     // 00000000D4AC: 7E58452C
	v_rcp_f32_e32 v45, v45                                     // 00000000D4B0: 7E5A452D
	v_rcp_f32_e32 v46, v46                                     // 00000000D4B4: 7E5C452E
	v_rcp_f32_e32 v47, v47                                     // 00000000D4B8: 7E5E452F
	v_pk_mul_f32 v[188:189], v[188:189], v[44:45]              // 00000000D4BC: D3B140BC 180259BC
	v_pk_mul_f32 v[190:191], v[190:191], v[46:47]              // 00000000D4C4: D3B140BE 18025DBE
	v_pk_mul_f32 v[188:189], v[188:189], v[124:125]            // 00000000D4CC: D3B140BC 1802F9BC
	v_pk_mul_f32 v[190:191], v[190:191], v[126:127]            // 00000000D4D4: D3B140BE 1802FDBE
	v_mul_f32_dpp v128, v18, v128 row_newbcast:0 row_mask:0xf bank_mask:0xf// 00000000D4DC: 0B0100FA FF015012
	v_mul_f32_dpp v129, v18, v129 row_newbcast:1 row_mask:0xf bank_mask:0xf// 00000000D4E4: 0B0302FA FF015112
	v_mul_f32_dpp v130, v18, v130 row_newbcast:2 row_mask:0xf bank_mask:0xf// 00000000D4EC: 0B0504FA FF015212
	v_mul_f32_dpp v131, v18, v131 row_newbcast:3 row_mask:0xf bank_mask:0xf// 00000000D4F4: 0B0706FA FF015312
	v_mul_f32_dpp v132, v18, v132 row_newbcast:0 row_mask:0xf bank_mask:0xf// 00000000D4FC: 0B0908FA FF015012
	v_mul_f32_dpp v133, v18, v133 row_newbcast:1 row_mask:0xf bank_mask:0xf// 00000000D504: 0B0B0AFA FF015112
	v_mul_f32_dpp v134, v18, v134 row_newbcast:2 row_mask:0xf bank_mask:0xf// 00000000D50C: 0B0D0CFA FF015212
	v_mul_f32_dpp v135, v18, v135 row_newbcast:3 row_mask:0xf bank_mask:0xf// 00000000D514: 0B0F0EFA FF015312
	v_mul_f32_dpp v136, v18, v136 row_newbcast:4 row_mask:0xf bank_mask:0xf// 00000000D51C: 0B1110FA FF015412
	v_mul_f32_dpp v137, v18, v137 row_newbcast:5 row_mask:0xf bank_mask:0xf// 00000000D524: 0B1312FA FF015512
	v_mul_f32_dpp v138, v18, v138 row_newbcast:6 row_mask:0xf bank_mask:0xf// 00000000D52C: 0B1514FA FF015612
	v_mul_f32_dpp v139, v18, v139 row_newbcast:7 row_mask:0xf bank_mask:0xf// 00000000D534: 0B1716FA FF015712
	v_mul_f32_dpp v140, v18, v140 row_newbcast:4 row_mask:0xf bank_mask:0xf// 00000000D53C: 0B1918FA FF015412
	v_mul_f32_dpp v141, v18, v141 row_newbcast:5 row_mask:0xf bank_mask:0xf// 00000000D544: 0B1B1AFA FF015512
	v_mul_f32_dpp v142, v18, v142 row_newbcast:6 row_mask:0xf bank_mask:0xf// 00000000D54C: 0B1D1CFA FF015612
	v_mul_f32_dpp v143, v18, v143 row_newbcast:7 row_mask:0xf bank_mask:0xf// 00000000D554: 0B1F1EFA FF015712
	v_mul_f32_dpp v144, v18, v144 row_newbcast:8 row_mask:0xf bank_mask:0xf// 00000000D55C: 0B2120FA FF015812
	v_mul_f32_dpp v145, v18, v145 row_newbcast:9 row_mask:0xf bank_mask:0xf// 00000000D564: 0B2322FA FF015912
	v_mul_f32_dpp v146, v18, v146 row_newbcast:10 row_mask:0xf bank_mask:0xf// 00000000D56C: 0B2524FA FF015A12
	v_mul_f32_dpp v147, v18, v147 row_newbcast:11 row_mask:0xf bank_mask:0xf// 00000000D574: 0B2726FA FF015B12
	v_mul_f32_dpp v148, v18, v148 row_newbcast:8 row_mask:0xf bank_mask:0xf// 00000000D57C: 0B2928FA FF015812
	v_mul_f32_dpp v149, v18, v149 row_newbcast:9 row_mask:0xf bank_mask:0xf// 00000000D584: 0B2B2AFA FF015912
	v_mul_f32_dpp v150, v18, v150 row_newbcast:10 row_mask:0xf bank_mask:0xf// 00000000D58C: 0B2D2CFA FF015A12
	v_mul_f32_dpp v151, v18, v151 row_newbcast:11 row_mask:0xf bank_mask:0xf// 00000000D594: 0B2F2EFA FF015B12
	v_mul_f32_dpp v152, v18, v152 row_newbcast:12 row_mask:0xf bank_mask:0xf// 00000000D59C: 0B3130FA FF015C12
	v_mul_f32_dpp v153, v18, v153 row_newbcast:13 row_mask:0xf bank_mask:0xf// 00000000D5A4: 0B3332FA FF015D12
	v_mul_f32_dpp v154, v18, v154 row_newbcast:14 row_mask:0xf bank_mask:0xf// 00000000D5AC: 0B3534FA FF015E12
	v_mul_f32_dpp v155, v18, v155 row_newbcast:15 row_mask:0xf bank_mask:0xf// 00000000D5B4: 0B3736FA FF015F12
	v_mul_f32_dpp v156, v18, v156 row_newbcast:12 row_mask:0xf bank_mask:0xf// 00000000D5BC: 0B3938FA FF015C12
	v_mul_f32_dpp v157, v18, v157 row_newbcast:13 row_mask:0xf bank_mask:0xf// 00000000D5C4: 0B3B3AFA FF015D12
	v_mul_f32_dpp v158, v18, v158 row_newbcast:14 row_mask:0xf bank_mask:0xf// 00000000D5CC: 0B3D3CFA FF015E12
	v_mul_f32_dpp v159, v18, v159 row_newbcast:15 row_mask:0xf bank_mask:0xf// 00000000D5D4: 0B3F3EFA FF015F12
	v_mul_f32_dpp v160, v19, v160 row_newbcast:0 row_mask:0xf bank_mask:0xf// 00000000D5DC: 0B4140FA FF015013
	v_mul_f32_dpp v161, v19, v161 row_newbcast:1 row_mask:0xf bank_mask:0xf// 00000000D5E4: 0B4342FA FF015113
	v_mul_f32_dpp v162, v19, v162 row_newbcast:2 row_mask:0xf bank_mask:0xf// 00000000D5EC: 0B4544FA FF015213
	v_mul_f32_dpp v163, v19, v163 row_newbcast:3 row_mask:0xf bank_mask:0xf// 00000000D5F4: 0B4746FA FF015313
	v_mul_f32_dpp v164, v19, v164 row_newbcast:0 row_mask:0xf bank_mask:0xf// 00000000D5FC: 0B4948FA FF015013
	v_mul_f32_dpp v165, v19, v165 row_newbcast:1 row_mask:0xf bank_mask:0xf// 00000000D604: 0B4B4AFA FF015113
	v_mul_f32_dpp v166, v19, v166 row_newbcast:2 row_mask:0xf bank_mask:0xf// 00000000D60C: 0B4D4CFA FF015213
	v_mul_f32_dpp v167, v19, v167 row_newbcast:3 row_mask:0xf bank_mask:0xf// 00000000D614: 0B4F4EFA FF015313
	v_mul_f32_dpp v168, v19, v168 row_newbcast:4 row_mask:0xf bank_mask:0xf// 00000000D61C: 0B5150FA FF015413
	v_mul_f32_dpp v169, v19, v169 row_newbcast:5 row_mask:0xf bank_mask:0xf// 00000000D624: 0B5352FA FF015513
	v_mul_f32_dpp v170, v19, v170 row_newbcast:6 row_mask:0xf bank_mask:0xf// 00000000D62C: 0B5554FA FF015613
	v_mul_f32_dpp v171, v19, v171 row_newbcast:7 row_mask:0xf bank_mask:0xf// 00000000D634: 0B5756FA FF015713
	v_mul_f32_dpp v172, v19, v172 row_newbcast:4 row_mask:0xf bank_mask:0xf// 00000000D63C: 0B5958FA FF015413
	v_mul_f32_dpp v173, v19, v173 row_newbcast:5 row_mask:0xf bank_mask:0xf// 00000000D644: 0B5B5AFA FF015513
	v_mul_f32_dpp v174, v19, v174 row_newbcast:6 row_mask:0xf bank_mask:0xf// 00000000D64C: 0B5D5CFA FF015613
	v_mul_f32_dpp v175, v19, v175 row_newbcast:7 row_mask:0xf bank_mask:0xf// 00000000D654: 0B5F5EFA FF015713
	v_mul_f32_dpp v176, v19, v176 row_newbcast:8 row_mask:0xf bank_mask:0xf// 00000000D65C: 0B6160FA FF015813
	v_mul_f32_dpp v177, v19, v177 row_newbcast:9 row_mask:0xf bank_mask:0xf// 00000000D664: 0B6362FA FF015913
	v_mul_f32_dpp v178, v19, v178 row_newbcast:10 row_mask:0xf bank_mask:0xf// 00000000D66C: 0B6564FA FF015A13
	v_mul_f32_dpp v179, v19, v179 row_newbcast:11 row_mask:0xf bank_mask:0xf// 00000000D674: 0B6766FA FF015B13
	v_mul_f32_dpp v180, v19, v180 row_newbcast:8 row_mask:0xf bank_mask:0xf// 00000000D67C: 0B6968FA FF015813
	v_mul_f32_dpp v181, v19, v181 row_newbcast:9 row_mask:0xf bank_mask:0xf// 00000000D684: 0B6B6AFA FF015913
	v_mul_f32_dpp v182, v19, v182 row_newbcast:10 row_mask:0xf bank_mask:0xf// 00000000D68C: 0B6D6CFA FF015A13
	v_mul_f32_dpp v183, v19, v183 row_newbcast:11 row_mask:0xf bank_mask:0xf// 00000000D694: 0B6F6EFA FF015B13
	v_mul_f32_dpp v184, v19, v184 row_newbcast:12 row_mask:0xf bank_mask:0xf// 00000000D69C: 0B7170FA FF015C13
	v_mul_f32_dpp v185, v19, v185 row_newbcast:13 row_mask:0xf bank_mask:0xf// 00000000D6A4: 0B7372FA FF015D13
	v_mul_f32_dpp v186, v19, v186 row_newbcast:14 row_mask:0xf bank_mask:0xf// 00000000D6AC: 0B7574FA FF015E13
	v_mul_f32_dpp v187, v19, v187 row_newbcast:15 row_mask:0xf bank_mask:0xf// 00000000D6B4: 0B7776FA FF015F13
	v_mul_f32_dpp v188, v19, v188 row_newbcast:12 row_mask:0xf bank_mask:0xf// 00000000D6BC: 0B7978FA FF015C13
	v_mul_f32_dpp v189, v19, v189 row_newbcast:13 row_mask:0xf bank_mask:0xf// 00000000D6C4: 0B7B7AFA FF015D13
	v_mul_f32_dpp v190, v19, v190 row_newbcast:14 row_mask:0xf bank_mask:0xf// 00000000D6CC: 0B7D7CFA FF015E13
	v_mul_f32_dpp v191, v19, v191 row_newbcast:15 row_mask:0xf bank_mask:0xf// 00000000D6D4: 0B7F7EFA FF015F13
	v_lshlrev_b32_e32 v44, 2, v0                               // 00000000D6DC: 24580082
	s_mul_i32 s60, s82, s71                                    // 00000000D6E0: 923C4752
	v_add_u32_e64 v80, v44, s60                                // 00000000D6E4: D1340050 0000792C
	v_mov_b32_e32 v81, 0                                       // 00000000D6EC: 7EA20280
	s_mul_i32 s60, s83, s71                                    // 00000000D6F0: 923C4753
	v_add_u32_e64 v82, v44, s60                                // 00000000D6F4: D1340052 0000792C
	v_mov_b32_e32 v83, 0                                       // 00000000D6FC: 7EA60280
	s_mul_i32 s60, s84, s71                                    // 00000000D700: 923C4754
	v_add_u32_e64 v84, v44, s60                                // 00000000D704: D1340054 0000792C
	v_mov_b32_e32 v85, 0                                       // 00000000D70C: 7EAA0280
	s_mul_i32 s60, s85, s71                                    // 00000000D710: 923C4755
	v_add_u32_e64 v86, v44, s60                                // 00000000D714: D1340056 0000792C
	v_mov_b32_e32 v87, 0                                       // 00000000D71C: 7EAE0280
	s_mul_i32 s60, s86, s71                                    // 00000000D720: 923C4756
	v_add_u32_e64 v88, v44, s60                                // 00000000D724: D1340058 0000792C
	v_mov_b32_e32 v89, 0                                       // 00000000D72C: 7EB20280
	s_mul_i32 s60, s87, s71                                    // 00000000D730: 923C4757
	v_add_u32_e64 v90, v44, s60                                // 00000000D734: D134005A 0000792C
	v_mov_b32_e32 v91, 0                                       // 00000000D73C: 7EB60280
	s_mul_i32 s60, s88, s71                                    // 00000000D740: 923C4758
	v_add_u32_e64 v92, v44, s60                                // 00000000D744: D134005C 0000792C
	v_mov_b32_e32 v93, 0                                       // 00000000D74C: 7EBA0280
	s_mul_i32 s60, s89, s71                                    // 00000000D750: 923C4759
	v_add_u32_e64 v94, v44, s60                                // 00000000D754: D134005E 0000792C
	v_mov_b32_e32 v95, 0                                       // 00000000D75C: 7EBE0280
	buffer_load_dword v12, v5, s[16:19], 0 offen               // 00000000D760: E0501000 80040C05
	v_mov_b32_e32 v22, 0x358637bd                              // 00000000D768: 7E2C02FF 358637BD
	v_mov_b32_e32 v23, 0x358637bd                              // 00000000D770: 7E2E02FF 358637BD
	v_max3_f32 v22, |v128|, |v129|, v22                        // 00000000D778: D1D30316 045B0380
	v_max3_f32 v22, |v130|, |v131|, v22                        // 00000000D780: D1D30316 045B0782
	v_max3_f32 v23, |v132|, |v133|, v23                        // 00000000D788: D1D30317 045F0B84
	v_max3_f32 v23, |v134|, |v135|, v23                        // 00000000D790: D1D30317 045F0F86
	v_max3_f32 v22, |v136|, |v137|, v22                        // 00000000D798: D1D30316 045B1388
	v_max3_f32 v22, |v138|, |v139|, v22                        // 00000000D7A0: D1D30316 045B178A
	v_max3_f32 v23, |v140|, |v141|, v23                        // 00000000D7A8: D1D30317 045F1B8C
	v_max3_f32 v23, |v142|, |v143|, v23                        // 00000000D7B0: D1D30317 045F1F8E
	v_max3_f32 v22, |v144|, |v145|, v22                        // 00000000D7B8: D1D30316 045B2390
	v_max3_f32 v22, |v146|, |v147|, v22                        // 00000000D7C0: D1D30316 045B2792
	v_max3_f32 v23, |v148|, |v149|, v23                        // 00000000D7C8: D1D30317 045F2B94
	v_max3_f32 v23, |v150|, |v151|, v23                        // 00000000D7D0: D1D30317 045F2F96
	v_max3_f32 v22, |v152|, |v153|, v22                        // 00000000D7D8: D1D30316 045B3398
	v_max3_f32 v22, |v154|, |v155|, v22                        // 00000000D7E0: D1D30316 045B379A
	v_max3_f32 v23, |v156|, |v157|, v23                        // 00000000D7E8: D1D30317 045F3B9C
	v_max3_f32 v23, |v158|, |v159|, v23                        // 00000000D7F0: D1D30317 045F3F9E
	v_max3_f32 v22, |v160|, |v161|, v22                        // 00000000D7F8: D1D30316 045B43A0
	v_max3_f32 v22, |v162|, |v163|, v22                        // 00000000D800: D1D30316 045B47A2
	v_max3_f32 v23, |v164|, |v165|, v23                        // 00000000D808: D1D30317 045F4BA4
	v_max3_f32 v23, |v166|, |v167|, v23                        // 00000000D810: D1D30317 045F4FA6
	v_max3_f32 v22, |v168|, |v169|, v22                        // 00000000D818: D1D30316 045B53A8
	v_max3_f32 v22, |v170|, |v171|, v22                        // 00000000D820: D1D30316 045B57AA
	v_max3_f32 v23, |v172|, |v173|, v23                        // 00000000D828: D1D30317 045F5BAC
	v_max3_f32 v23, |v174|, |v175|, v23                        // 00000000D830: D1D30317 045F5FAE
	v_max3_f32 v22, |v176|, |v177|, v22                        // 00000000D838: D1D30316 045B63B0
	v_max3_f32 v22, |v178|, |v179|, v22                        // 00000000D840: D1D30316 045B67B2
	v_max3_f32 v23, |v180|, |v181|, v23                        // 00000000D848: D1D30317 045F6BB4
	v_max3_f32 v23, |v182|, |v183|, v23                        // 00000000D850: D1D30317 045F6FB6
	v_max3_f32 v22, |v184|, |v185|, v22                        // 00000000D858: D1D30316 045B73B8
	v_max3_f32 v22, |v186|, |v187|, v22                        // 00000000D860: D1D30316 045B77BA
	v_max3_f32 v23, |v188|, |v189|, v23                        // 00000000D868: D1D30317 045F7BBC
	v_max3_f32 v23, |v190|, |v191|, v23                        // 00000000D870: D1D30317 045F7FBE
	v_lshlrev_b32_e32 v44, 3, v0                               // 00000000D878: 24580083
	s_mul_i32 s60, 0x200, s5                                   // 00000000D87C: 923C05FF 00000200
	v_add_u32_e32 v44, s60, v44                                // 00000000D884: 6858583C
	ds_write_b64 v44, v[22:23]                                 // 00000000D888: D89A0000 0000162C
	s_waitcnt lgkmcnt(0)                                       // 00000000D890: BF8CC07F
	s_barrier                                                  // 00000000D894: BF8A0000
	v_and_b32_e32 v44, 15, v0                                  // 00000000D898: 2658008F
	v_lshlrev_b32_e32 v44, 3, v44                              // 00000000D89C: 24585883
	ds_read_b64 v[96:97], v44                                  // 00000000D8A0: D8EC0000 6000002C
	ds_read_b64 v[98:99], v44 offset:128                       // 00000000D8A8: D8EC0080 6200002C
	ds_read_b64 v[100:101], v44 offset:256                     // 00000000D8B0: D8EC0100 6400002C
	ds_read_b64 v[102:103], v44 offset:384                     // 00000000D8B8: D8EC0180 6600002C
	ds_read_b64 v[104:105], v44 offset:512                     // 00000000D8C0: D8EC0200 6800002C
	ds_read_b64 v[106:107], v44 offset:640                     // 00000000D8C8: D8EC0280 6A00002C
	ds_read_b64 v[108:109], v44 offset:768                     // 00000000D8D0: D8EC0300 6C00002C
	ds_read_b64 v[110:111], v44 offset:896                     // 00000000D8D8: D8EC0380 6E00002C
	ds_read_b64 v[112:113], v44 offset:1024                    // 00000000D8E0: D8EC0400 7000002C
	ds_read_b64 v[114:115], v44 offset:1152                    // 00000000D8E8: D8EC0480 7200002C
	ds_read_b64 v[116:117], v44 offset:1280                    // 00000000D8F0: D8EC0500 7400002C
	ds_read_b64 v[118:119], v44 offset:1408                    // 00000000D8F8: D8EC0580 7600002C
	ds_read_b64 v[120:121], v44 offset:1536                    // 00000000D900: D8EC0600 7800002C
	ds_read_b64 v[122:123], v44 offset:1664                    // 00000000D908: D8EC0680 7A00002C
	ds_read_b64 v[124:125], v44 offset:1792                    // 00000000D910: D8EC0700 7C00002C
	ds_read_b64 v[126:127], v44 offset:1920                    // 00000000D918: D8EC0780 7E00002C
	s_waitcnt lgkmcnt(0)                                       // 00000000D920: BF8CC07F
	v_max3_f32 v22, |v96|, |v98|, v22                          // 00000000D924: D1D30316 045AC560
	v_max3_f32 v23, |v97|, |v99|, v23                          // 00000000D92C: D1D30317 045EC761
	v_max3_f32 v22, |v100|, |v102|, v22                        // 00000000D934: D1D30316 045ACD64
	v_max3_f32 v23, |v101|, |v103|, v23                        // 00000000D93C: D1D30317 045ECF65
	v_max3_f32 v22, |v104|, |v106|, v22                        // 00000000D944: D1D30316 045AD568
	v_max3_f32 v23, |v105|, |v107|, v23                        // 00000000D94C: D1D30317 045ED769
	v_max3_f32 v22, |v108|, |v110|, v22                        // 00000000D954: D1D30316 045ADD6C
	v_max3_f32 v23, |v109|, |v111|, v23                        // 00000000D95C: D1D30317 045EDF6D
	v_max3_f32 v22, |v112|, |v114|, v22                        // 00000000D964: D1D30316 045AE570
	v_max3_f32 v23, |v113|, |v115|, v23                        // 00000000D96C: D1D30317 045EE771
	v_max3_f32 v22, |v116|, |v118|, v22                        // 00000000D974: D1D30316 045AED74
	v_max3_f32 v23, |v117|, |v119|, v23                        // 00000000D97C: D1D30317 045EEF75
	v_max3_f32 v22, |v120|, |v122|, v22                        // 00000000D984: D1D30316 045AF578
	v_max3_f32 v23, |v121|, |v123|, v23                        // 00000000D98C: D1D30317 045EF779
	v_max3_f32 v22, |v124|, |v126|, v22                        // 00000000D994: D1D30316 045AFD7C
	v_max3_f32 v23, |v125|, |v127|, v23                        // 00000000D99C: D1D30317 045EFF7D
	v_rcp_f32_e32 v22, v22                                     // 00000000D9A4: 7E2C4516
	v_rcp_f32_e32 v23, v23                                     // 00000000D9A8: 7E2E4517
	v_mov_b32_e32 v44, 0x43700000                              // 00000000D9AC: 7E5802FF 43700000
	v_mul_f32_e32 v22, v44, v22                                // 00000000D9B4: 0A2C2D2C
	v_mul_f32_e32 v23, v44, v23                                // 00000000D9B8: 0A2E2F2C
	v_mul_f32_e32 v128, v22, v128                              // 00000000D9BC: 0B010116
	v_mul_f32_e32 v129, v22, v129                              // 00000000D9C0: 0B030316
	v_mul_f32_e32 v130, v22, v130                              // 00000000D9C4: 0B050516
	v_mul_f32_e32 v131, v22, v131                              // 00000000D9C8: 0B070716
	v_cvt_pk_fp8_f32 v128, v128, v129                          // 00000000D9CC: D2A20080 00030380
	v_cvt_pk_fp8_f32 v128, v130, v131 op_sel:[0,0,1]           // 00000000D9D4: D2A24080 00030782
	v_mul_f32_e32 v132, v23, v132                              // 00000000D9DC: 0B090917
	v_mul_f32_e32 v133, v23, v133                              // 00000000D9E0: 0B0B0B17
	v_mul_f32_e32 v134, v23, v134                              // 00000000D9E4: 0B0D0D17
	v_mul_f32_e32 v135, v23, v135                              // 00000000D9E8: 0B0F0F17
	v_cvt_pk_fp8_f32 v129, v132, v133                          // 00000000D9EC: D2A20081 00030B84
	v_cvt_pk_fp8_f32 v129, v134, v135 op_sel:[0,0,1]           // 00000000D9F4: D2A24081 00030F86
	v_mul_f32_e32 v136, v22, v136                              // 00000000D9FC: 0B111116
	v_mul_f32_e32 v137, v22, v137                              // 00000000DA00: 0B131316
	v_mul_f32_e32 v138, v22, v138                              // 00000000DA04: 0B151516
	v_mul_f32_e32 v139, v22, v139                              // 00000000DA08: 0B171716
	v_cvt_pk_fp8_f32 v130, v136, v137                          // 00000000DA0C: D2A20082 00031388
	v_cvt_pk_fp8_f32 v130, v138, v139 op_sel:[0,0,1]           // 00000000DA14: D2A24082 0003178A
	v_mul_f32_e32 v140, v23, v140                              // 00000000DA1C: 0B191917
	v_mul_f32_e32 v141, v23, v141                              // 00000000DA20: 0B1B1B17
	v_mul_f32_e32 v142, v23, v142                              // 00000000DA24: 0B1D1D17
	v_mul_f32_e32 v143, v23, v143                              // 00000000DA28: 0B1F1F17
	v_cvt_pk_fp8_f32 v131, v140, v141                          // 00000000DA2C: D2A20083 00031B8C
	v_cvt_pk_fp8_f32 v131, v142, v143 op_sel:[0,0,1]           // 00000000DA34: D2A24083 00031F8E
	v_mul_f32_e32 v144, v22, v144                              // 00000000DA3C: 0B212116
	v_mul_f32_e32 v145, v22, v145                              // 00000000DA40: 0B232316
	v_mul_f32_e32 v146, v22, v146                              // 00000000DA44: 0B252516
	v_mul_f32_e32 v147, v22, v147                              // 00000000DA48: 0B272716
	v_cvt_pk_fp8_f32 v132, v144, v145                          // 00000000DA4C: D2A20084 00032390
	v_cvt_pk_fp8_f32 v132, v146, v147 op_sel:[0,0,1]           // 00000000DA54: D2A24084 00032792
	v_mul_f32_e32 v148, v23, v148                              // 00000000DA5C: 0B292917
	v_mul_f32_e32 v149, v23, v149                              // 00000000DA60: 0B2B2B17
	v_mul_f32_e32 v150, v23, v150                              // 00000000DA64: 0B2D2D17
	v_mul_f32_e32 v151, v23, v151                              // 00000000DA68: 0B2F2F17
	v_cvt_pk_fp8_f32 v133, v148, v149                          // 00000000DA6C: D2A20085 00032B94
	v_cvt_pk_fp8_f32 v133, v150, v151 op_sel:[0,0,1]           // 00000000DA74: D2A24085 00032F96
	v_mul_f32_e32 v152, v22, v152                              // 00000000DA7C: 0B313116
	v_mul_f32_e32 v153, v22, v153                              // 00000000DA80: 0B333316
	v_mul_f32_e32 v154, v22, v154                              // 00000000DA84: 0B353516
	v_mul_f32_e32 v155, v22, v155                              // 00000000DA88: 0B373716
	v_cvt_pk_fp8_f32 v134, v152, v153                          // 00000000DA8C: D2A20086 00033398
	v_cvt_pk_fp8_f32 v134, v154, v155 op_sel:[0,0,1]           // 00000000DA94: D2A24086 0003379A
	v_mul_f32_e32 v156, v23, v156                              // 00000000DA9C: 0B393917
	v_mul_f32_e32 v157, v23, v157                              // 00000000DAA0: 0B3B3B17
	v_mul_f32_e32 v158, v23, v158                              // 00000000DAA4: 0B3D3D17
	v_mul_f32_e32 v159, v23, v159                              // 00000000DAA8: 0B3F3F17
	v_cvt_pk_fp8_f32 v135, v156, v157                          // 00000000DAAC: D2A20087 00033B9C
	v_cvt_pk_fp8_f32 v135, v158, v159 op_sel:[0,0,1]           // 00000000DAB4: D2A24087 00033F9E
	v_mul_f32_e32 v160, v22, v160                              // 00000000DABC: 0B414116
	v_mul_f32_e32 v161, v22, v161                              // 00000000DAC0: 0B434316
	v_mul_f32_e32 v162, v22, v162                              // 00000000DAC4: 0B454516
	v_mul_f32_e32 v163, v22, v163                              // 00000000DAC8: 0B474716
	v_cvt_pk_fp8_f32 v136, v160, v161                          // 00000000DACC: D2A20088 000343A0
	v_cvt_pk_fp8_f32 v136, v162, v163 op_sel:[0,0,1]           // 00000000DAD4: D2A24088 000347A2
	v_mul_f32_e32 v164, v23, v164                              // 00000000DADC: 0B494917
	v_mul_f32_e32 v165, v23, v165                              // 00000000DAE0: 0B4B4B17
	v_mul_f32_e32 v166, v23, v166                              // 00000000DAE4: 0B4D4D17
	v_mul_f32_e32 v167, v23, v167                              // 00000000DAE8: 0B4F4F17
	v_cvt_pk_fp8_f32 v137, v164, v165                          // 00000000DAEC: D2A20089 00034BA4
	v_cvt_pk_fp8_f32 v137, v166, v167 op_sel:[0,0,1]           // 00000000DAF4: D2A24089 00034FA6
	v_mul_f32_e32 v168, v22, v168                              // 00000000DAFC: 0B515116
	v_mul_f32_e32 v169, v22, v169                              // 00000000DB00: 0B535316
	v_mul_f32_e32 v170, v22, v170                              // 00000000DB04: 0B555516
	v_mul_f32_e32 v171, v22, v171                              // 00000000DB08: 0B575716
	v_cvt_pk_fp8_f32 v138, v168, v169                          // 00000000DB0C: D2A2008A 000353A8
	v_cvt_pk_fp8_f32 v138, v170, v171 op_sel:[0,0,1]           // 00000000DB14: D2A2408A 000357AA
	v_mul_f32_e32 v172, v23, v172                              // 00000000DB1C: 0B595917
	v_mul_f32_e32 v173, v23, v173                              // 00000000DB20: 0B5B5B17
	v_mul_f32_e32 v174, v23, v174                              // 00000000DB24: 0B5D5D17
	v_mul_f32_e32 v175, v23, v175                              // 00000000DB28: 0B5F5F17
	v_cvt_pk_fp8_f32 v139, v172, v173                          // 00000000DB2C: D2A2008B 00035BAC
	v_cvt_pk_fp8_f32 v139, v174, v175 op_sel:[0,0,1]           // 00000000DB34: D2A2408B 00035FAE
	v_mul_f32_e32 v176, v22, v176                              // 00000000DB3C: 0B616116
	v_mul_f32_e32 v177, v22, v177                              // 00000000DB40: 0B636316
	v_mul_f32_e32 v178, v22, v178                              // 00000000DB44: 0B656516
	v_mul_f32_e32 v179, v22, v179                              // 00000000DB48: 0B676716
	v_cvt_pk_fp8_f32 v140, v176, v177                          // 00000000DB4C: D2A2008C 000363B0
	v_cvt_pk_fp8_f32 v140, v178, v179 op_sel:[0,0,1]           // 00000000DB54: D2A2408C 000367B2
	v_mul_f32_e32 v180, v23, v180                              // 00000000DB5C: 0B696917
	v_mul_f32_e32 v181, v23, v181                              // 00000000DB60: 0B6B6B17
	v_mul_f32_e32 v182, v23, v182                              // 00000000DB64: 0B6D6D17
	v_mul_f32_e32 v183, v23, v183                              // 00000000DB68: 0B6F6F17
	v_cvt_pk_fp8_f32 v141, v180, v181                          // 00000000DB6C: D2A2008D 00036BB4
	v_cvt_pk_fp8_f32 v141, v182, v183 op_sel:[0,0,1]           // 00000000DB74: D2A2408D 00036FB6
	v_mul_f32_e32 v184, v22, v184                              // 00000000DB7C: 0B717116
	v_mul_f32_e32 v185, v22, v185                              // 00000000DB80: 0B737316
	v_mul_f32_e32 v186, v22, v186                              // 00000000DB84: 0B757516
	v_mul_f32_e32 v187, v22, v187                              // 00000000DB88: 0B777716
	v_cvt_pk_fp8_f32 v142, v184, v185                          // 00000000DB8C: D2A2008E 000373B8
	v_cvt_pk_fp8_f32 v142, v186, v187 op_sel:[0,0,1]           // 00000000DB94: D2A2408E 000377BA
	v_mul_f32_e32 v188, v23, v188                              // 00000000DB9C: 0B797917
	v_mul_f32_e32 v189, v23, v189                              // 00000000DBA0: 0B7B7B17
	v_mul_f32_e32 v190, v23, v190                              // 00000000DBA4: 0B7D7D17
	v_mul_f32_e32 v191, v23, v191                              // 00000000DBA8: 0B7F7F17
	v_cvt_pk_fp8_f32 v143, v188, v189                          // 00000000DBAC: D2A2008F 00037BBC
	v_cvt_pk_fp8_f32 v143, v190, v191 op_sel:[0,0,1]           // 00000000DBB4: D2A2408F 00037FBE
	v_rcp_f32_e32 v24, v22                                     // 00000000DBBC: 7E304516
	v_rcp_f32_e32 v25, v23                                     // 00000000DBC0: 7E324517
	v_lshrrev_b32_e32 v44, 5, v0                               // 00000000DBC4: 20580085
	v_lshlrev_b32_e32 v45, 5, v44                              // 00000000DBC8: 245A5885
	v_and_b32_e32 v44, 31, v0                                  // 00000000DBCC: 2658009F
	v_lshrrev_b32_e32 v46, 4, v44                              // 00000000DBD0: 205C5884
	v_add_u32_e32 v45, v46, v45                                // 00000000DBD4: 685A5B2E
	v_and_b32_e32 v44, 15, v0                                  // 00000000DBD8: 2658008F
	v_lshlrev_b32_e32 v44, 1, v44                              // 00000000DBDC: 24585881
	v_add_u32_e32 v45, v44, v45                                // 00000000DBE0: 685A5B2C
	v_lshlrev_b32_e32 v44, 2, v45                              // 00000000DBE4: 24585A82
	s_mul_i32 s60, 0x100, s5                                   // 00000000DBE8: 923C05FF 00000100
	v_add_u32_e64 v44, v44, s60                                // 00000000DBF0: D134002C 0000792C
	ds_write_b32 v44, v128 offset:2048                         // 00000000DBF8: D81A0800 0000802C
	ds_write_b32 v44, v129 offset:10240                        // 00000000DC00: D81A2800 0000812C
	ds_write_b32 v44, v130 offset:3072                         // 00000000DC08: D81A0C00 0000822C
	ds_write_b32 v44, v131 offset:11264                        // 00000000DC10: D81A2C00 0000832C
	ds_write_b32 v44, v132 offset:4096                         // 00000000DC18: D81A1000 0000842C
	ds_write_b32 v44, v133 offset:12288                        // 00000000DC20: D81A3000 0000852C
	ds_write_b32 v44, v134 offset:5120                         // 00000000DC28: D81A1400 0000862C
	ds_write_b32 v44, v135 offset:13312                        // 00000000DC30: D81A3400 0000872C
	ds_write_b32 v44, v136 offset:6144                         // 00000000DC38: D81A1800 0000882C
	ds_write_b32 v44, v137 offset:14336                        // 00000000DC40: D81A3800 0000892C
	ds_write_b32 v44, v138 offset:7168                         // 00000000DC48: D81A1C00 00008A2C
	ds_write_b32 v44, v139 offset:15360                        // 00000000DC50: D81A3C00 00008B2C
	ds_write_b32 v44, v140 offset:8192                         // 00000000DC58: D81A2000 00008C2C
	ds_write_b32 v44, v141 offset:16384                        // 00000000DC60: D81A4000 00008D2C
	ds_write_b32 v44, v142 offset:9216                         // 00000000DC68: D81A2400 00008E2C
	ds_write_b32 v44, v143 offset:17408                        // 00000000DC70: D81A4400 00008F2C
	s_waitcnt lgkmcnt(0)                                       // 00000000DC78: BF8CC07F
	s_barrier                                                  // 00000000DC7C: BF8A0000
	v_lshrrev_b32_e32 v44, 4, v0                               // 00000000DC80: 20580084
	v_lshlrev_b32_e32 v45, 6, v44                              // 00000000DC84: 245A5886
	v_and_b32_e32 v44, 15, v0                                  // 00000000DC88: 2658008F
	v_lshlrev_b32_e32 v44, 1, v44                              // 00000000DC8C: 24585881
	v_add_u32_e32 v45, v44, v45                                // 00000000DC90: 685A5B2C
	v_lshlrev_b32_e32 v44, 2, v45                              // 00000000DC94: 24585A82
	ds_read_b64 v[128:129], v44 offset:2048                    // 00000000DC98: D8EC0800 8000002C
	ds_read_b64 v[130:131], v44 offset:2176                    // 00000000DCA0: D8EC0880 8200002C
	ds_read_b64 v[132:133], v44 offset:3072                    // 00000000DCA8: D8EC0C00 8400002C
	ds_read_b64 v[134:135], v44 offset:3200                    // 00000000DCB0: D8EC0C80 8600002C
	ds_read_b64 v[136:137], v44 offset:4096                    // 00000000DCB8: D8EC1000 8800002C
	ds_read_b64 v[138:139], v44 offset:4224                    // 00000000DCC0: D8EC1080 8A00002C
	ds_read_b64 v[140:141], v44 offset:5120                    // 00000000DCC8: D8EC1400 8C00002C
	ds_read_b64 v[142:143], v44 offset:5248                    // 00000000DCD0: D8EC1480 8E00002C
	ds_read_b64 v[144:145], v44 offset:6144                    // 00000000DCD8: D8EC1800 9000002C
	ds_read_b64 v[146:147], v44 offset:6272                    // 00000000DCE0: D8EC1880 9200002C
	ds_read_b64 v[148:149], v44 offset:7168                    // 00000000DCE8: D8EC1C00 9400002C
	ds_read_b64 v[150:151], v44 offset:7296                    // 00000000DCF0: D8EC1C80 9600002C
	ds_read_b64 v[152:153], v44 offset:8192                    // 00000000DCF8: D8EC2000 9800002C
	ds_read_b64 v[154:155], v44 offset:8320                    // 00000000DD00: D8EC2080 9A00002C
	ds_read_b64 v[156:157], v44 offset:9216                    // 00000000DD08: D8EC2400 9C00002C
	ds_read_b64 v[158:159], v44 offset:9344                    // 00000000DD10: D8EC2480 9E00002C
	ds_read_b64 v[160:161], v44 offset:10240                   // 00000000DD18: D8EC2800 A000002C
	ds_read_b64 v[162:163], v44 offset:10368                   // 00000000DD20: D8EC2880 A200002C
	ds_read_b64 v[164:165], v44 offset:11264                   // 00000000DD28: D8EC2C00 A400002C
	ds_read_b64 v[166:167], v44 offset:11392                   // 00000000DD30: D8EC2C80 A600002C
	ds_read_b64 v[168:169], v44 offset:12288                   // 00000000DD38: D8EC3000 A800002C
	ds_read_b64 v[170:171], v44 offset:12416                   // 00000000DD40: D8EC3080 AA00002C
	ds_read_b64 v[172:173], v44 offset:13312                   // 00000000DD48: D8EC3400 AC00002C
	ds_read_b64 v[174:175], v44 offset:13440                   // 00000000DD50: D8EC3480 AE00002C
	ds_read_b64 v[176:177], v44 offset:14336                   // 00000000DD58: D8EC3800 B000002C
	ds_read_b64 v[178:179], v44 offset:14464                   // 00000000DD60: D8EC3880 B200002C
	ds_read_b64 v[180:181], v44 offset:15360                   // 00000000DD68: D8EC3C00 B400002C
	ds_read_b64 v[182:183], v44 offset:15488                   // 00000000DD70: D8EC3C80 B600002C
	ds_read_b64 v[184:185], v44 offset:16384                   // 00000000DD78: D8EC4000 B800002C
	ds_read_b64 v[186:187], v44 offset:16512                   // 00000000DD80: D8EC4080 BA00002C
	ds_read_b64 v[188:189], v44 offset:17408                   // 00000000DD88: D8EC4400 BC00002C
	ds_read_b64 v[190:191], v44 offset:17536                   // 00000000DD90: D8EC4480 BE00002C
	s_add_u32 s12, s56, s12                                    // 00000000DD98: 800C0C38
	s_addc_u32 s13, 0, s13                                     // 00000000DD9C: 820D0D80
	s_add_u32 s16, s79, s16                                    // 00000000DDA0: 8010104F
	s_addc_u32 s17, 0, s17                                     // 00000000DDA4: 82111180
	s_mov_b32 s80, 0                                           // 00000000DDA8: BED00080
	s_waitcnt vmcnt(0) expcnt(0) lgkmcnt(0)                    // 00000000DDAC: BF8C0000

000000000000ddb0 <label_2BEC>:
	s_waitcnt vmcnt(45)                                        // 00000000DDB0: BF8C8F7D
	s_barrier                                                  // 00000000DDB4: BF8A0000
	v_mfma_f32_16x16x32_fp8_fp8 v[192:195], a[0:1], v[128:129], 0// 00000000DDB8: D3F300C0 0A030100
	buffer_load_dwordx4 a[128:131], v48, s[12:15], 0 offen     // 00000000DDC0: E05C1000 80838030
	v_mfma_f32_16x16x32_fp8_fp8 v[192:195], a[2:3], v[130:131], v[192:195]// 00000000DDC8: D3F300C0 0F030502
	v_mfma_f32_16x16x32_fp8_fp8 v[196:199], a[0:1], v[160:161], 0// 00000000DDD0: D3F300C4 0A034100
	v_mfma_f32_16x16x32_fp8_fp8 v[196:199], a[2:3], v[162:163], v[196:199]// 00000000DDD8: D3F300C4 0F134502
	v_mfma_f32_16x16x32_fp8_fp8 v[200:203], a[4:5], v[128:129], 0// 00000000DDE0: D3F300C8 0A030104
	buffer_load_dwordx4 a[132:135], v49, s[12:15], 0 offen     // 00000000DDE8: E05C1000 80838431
	v_mfma_f32_16x16x32_fp8_fp8 v[200:203], a[6:7], v[130:131], v[200:203]// 00000000DDF0: D3F300C8 0F230506
	v_mfma_f32_16x16x32_fp8_fp8 v[204:207], a[4:5], v[160:161], 0// 00000000DDF8: D3F300CC 0A034104
	v_mfma_f32_16x16x32_fp8_fp8 v[204:207], a[6:7], v[162:163], v[204:207]// 00000000DE00: D3F300CC 0F334506
	v_mfma_f32_16x16x32_fp8_fp8 v[208:211], a[8:9], v[128:129], 0// 00000000DE08: D3F300D0 0A030108
	buffer_load_dwordx4 a[136:139], v50, s[12:15], 0 offen     // 00000000DE10: E05C1000 80838832
	v_mfma_f32_16x16x32_fp8_fp8 v[208:211], a[10:11], v[130:131], v[208:211]// 00000000DE18: D3F300D0 0F43050A
	v_mfma_f32_16x16x32_fp8_fp8 v[212:215], a[8:9], v[160:161], 0// 00000000DE20: D3F300D4 0A034108
	v_mfma_f32_16x16x32_fp8_fp8 v[212:215], a[10:11], v[162:163], v[212:215]// 00000000DE28: D3F300D4 0F53450A
	v_mfma_f32_16x16x32_fp8_fp8 v[216:219], a[12:13], v[128:129], 0// 00000000DE30: D3F300D8 0A03010C
	buffer_load_dwordx4 a[140:143], v51, s[12:15], 0 offen     // 00000000DE38: E05C1000 80838C33
	s_add_u32 s12, s78, s12                                    // 00000000DE40: 800C0C4E
	s_addc_u32 s13, 0, s13                                     // 00000000DE44: 820D0D80
	v_mfma_f32_16x16x32_fp8_fp8 v[216:219], a[14:15], v[130:131], v[216:219]// 00000000DE48: D3F300D8 0F63050E
	v_mfma_f32_16x16x32_fp8_fp8 v[220:223], a[12:13], v[160:161], 0// 00000000DE50: D3F300DC 0A03410C
	v_mfma_f32_16x16x32_fp8_fp8 v[220:223], a[14:15], v[162:163], v[220:223]// 00000000DE58: D3F300DC 0F73450E
	s_waitcnt vmcnt(45)                                        // 00000000DE60: BF8C8F7D
	v_mfma_f32_16x16x32_fp8_fp8 v[192:195], a[16:17], v[132:133], v[192:195]// 00000000DE64: D3F300C0 0F030910
	buffer_load_dwordx4 a[144:147], v48, s[12:15], 0 offen     // 00000000DE6C: E05C1000 80839030
	v_mfma_f32_16x16x32_fp8_fp8 v[192:195], a[18:19], v[134:135], v[192:195]// 00000000DE74: D3F300C0 0F030D12
	v_mfma_f32_16x16x32_fp8_fp8 v[196:199], a[16:17], v[164:165], v[196:199]// 00000000DE7C: D3F300C4 0F134910
	v_mfma_f32_16x16x32_fp8_fp8 v[196:199], a[18:19], v[166:167], v[196:199]// 00000000DE84: D3F300C4 0F134D12
	v_mfma_f32_16x16x32_fp8_fp8 v[200:203], a[20:21], v[132:133], v[200:203]// 00000000DE8C: D3F300C8 0F230914
	buffer_load_dwordx4 a[148:151], v49, s[12:15], 0 offen     // 00000000DE94: E05C1000 80839431
	v_mfma_f32_16x16x32_fp8_fp8 v[200:203], a[22:23], v[134:135], v[200:203]// 00000000DE9C: D3F300C8 0F230D16
	v_mfma_f32_16x16x32_fp8_fp8 v[204:207], a[20:21], v[164:165], v[204:207]// 00000000DEA4: D3F300CC 0F334914
	v_mfma_f32_16x16x32_fp8_fp8 v[204:207], a[22:23], v[166:167], v[204:207]// 00000000DEAC: D3F300CC 0F334D16
	v_mfma_f32_16x16x32_fp8_fp8 v[208:211], a[24:25], v[132:133], v[208:211]// 00000000DEB4: D3F300D0 0F430918
	buffer_load_dwordx4 a[152:155], v50, s[12:15], 0 offen     // 00000000DEBC: E05C1000 80839832
	v_mfma_f32_16x16x32_fp8_fp8 v[208:211], a[26:27], v[134:135], v[208:211]// 00000000DEC4: D3F300D0 0F430D1A
	v_mfma_f32_16x16x32_fp8_fp8 v[212:215], a[24:25], v[164:165], v[212:215]// 00000000DECC: D3F300D4 0F534918
	v_mfma_f32_16x16x32_fp8_fp8 v[212:215], a[26:27], v[166:167], v[212:215]// 00000000DED4: D3F300D4 0F534D1A
	v_mfma_f32_16x16x32_fp8_fp8 v[216:219], a[28:29], v[132:133], v[216:219]// 00000000DEDC: D3F300D8 0F63091C
	buffer_load_dwordx4 a[156:159], v51, s[12:15], 0 offen     // 00000000DEE4: E05C1000 80839C33
	s_add_u32 s12, s78, s12                                    // 00000000DEEC: 800C0C4E
	s_addc_u32 s13, 0, s13                                     // 00000000DEF0: 820D0D80
	v_mfma_f32_16x16x32_fp8_fp8 v[216:219], a[30:31], v[134:135], v[216:219]// 00000000DEF4: D3F300D8 0F630D1E
	v_mfma_f32_16x16x32_fp8_fp8 v[220:223], a[28:29], v[164:165], v[220:223]// 00000000DEFC: D3F300DC 0F73491C
	v_mfma_f32_16x16x32_fp8_fp8 v[220:223], a[30:31], v[166:167], v[220:223]// 00000000DF04: D3F300DC 0F734D1E
	s_waitcnt vmcnt(45)                                        // 00000000DF0C: BF8C8F7D
	v_mfma_f32_16x16x32_fp8_fp8 v[192:195], a[32:33], v[136:137], v[192:195]// 00000000DF10: D3F300C0 0F031120
	buffer_load_dwordx4 a[160:163], v48, s[12:15], 0 offen     // 00000000DF18: E05C1000 8083A030
	v_mfma_f32_16x16x32_fp8_fp8 v[192:195], a[34:35], v[138:139], v[192:195]// 00000000DF20: D3F300C0 0F031522
	v_mfma_f32_16x16x32_fp8_fp8 v[196:199], a[32:33], v[168:169], v[196:199]// 00000000DF28: D3F300C4 0F135120
	v_mfma_f32_16x16x32_fp8_fp8 v[196:199], a[34:35], v[170:171], v[196:199]// 00000000DF30: D3F300C4 0F135522
	v_mfma_f32_16x16x32_fp8_fp8 v[200:203], a[36:37], v[136:137], v[200:203]// 00000000DF38: D3F300C8 0F231124
	buffer_load_dwordx4 a[164:167], v49, s[12:15], 0 offen     // 00000000DF40: E05C1000 8083A431
	v_mfma_f32_16x16x32_fp8_fp8 v[200:203], a[38:39], v[138:139], v[200:203]// 00000000DF48: D3F300C8 0F231526
	v_mfma_f32_16x16x32_fp8_fp8 v[204:207], a[36:37], v[168:169], v[204:207]// 00000000DF50: D3F300CC 0F335124
	v_mfma_f32_16x16x32_fp8_fp8 v[204:207], a[38:39], v[170:171], v[204:207]// 00000000DF58: D3F300CC 0F335526
	v_mfma_f32_16x16x32_fp8_fp8 v[208:211], a[40:41], v[136:137], v[208:211]// 00000000DF60: D3F300D0 0F431128
	buffer_load_dwordx4 a[168:171], v50, s[12:15], 0 offen     // 00000000DF68: E05C1000 8083A832
	v_mfma_f32_16x16x32_fp8_fp8 v[208:211], a[42:43], v[138:139], v[208:211]// 00000000DF70: D3F300D0 0F43152A
	v_mfma_f32_16x16x32_fp8_fp8 v[212:215], a[40:41], v[168:169], v[212:215]// 00000000DF78: D3F300D4 0F535128
	v_mfma_f32_16x16x32_fp8_fp8 v[212:215], a[42:43], v[170:171], v[212:215]// 00000000DF80: D3F300D4 0F53552A
	v_mfma_f32_16x16x32_fp8_fp8 v[216:219], a[44:45], v[136:137], v[216:219]// 00000000DF88: D3F300D8 0F63112C
	buffer_load_dwordx4 a[172:175], v51, s[12:15], 0 offen     // 00000000DF90: E05C1000 8083AC33
	s_add_u32 s12, s78, s12                                    // 00000000DF98: 800C0C4E
	s_addc_u32 s13, 0, s13                                     // 00000000DF9C: 820D0D80
	v_mfma_f32_16x16x32_fp8_fp8 v[216:219], a[46:47], v[138:139], v[216:219]// 00000000DFA0: D3F300D8 0F63152E
	v_mfma_f32_16x16x32_fp8_fp8 v[220:223], a[44:45], v[168:169], v[220:223]// 00000000DFA8: D3F300DC 0F73512C
	v_mfma_f32_16x16x32_fp8_fp8 v[220:223], a[46:47], v[170:171], v[220:223]// 00000000DFB0: D3F300DC 0F73552E
	s_waitcnt vmcnt(45)                                        // 00000000DFB8: BF8C8F7D
	v_mfma_f32_16x16x32_fp8_fp8 v[192:195], a[48:49], v[140:141], v[192:195]// 00000000DFBC: D3F300C0 0F031930
	buffer_load_dwordx4 a[176:179], v48, s[12:15], 0 offen     // 00000000DFC4: E05C1000 8083B030
	v_mfma_f32_16x16x32_fp8_fp8 v[192:195], a[50:51], v[142:143], v[192:195]// 00000000DFCC: D3F300C0 0F031D32
	v_mfma_f32_16x16x32_fp8_fp8 v[196:199], a[48:49], v[172:173], v[196:199]// 00000000DFD4: D3F300C4 0F135930
	v_mfma_f32_16x16x32_fp8_fp8 v[196:199], a[50:51], v[174:175], v[196:199]// 00000000DFDC: D3F300C4 0F135D32
	v_mfma_f32_16x16x32_fp8_fp8 v[200:203], a[52:53], v[140:141], v[200:203]// 00000000DFE4: D3F300C8 0F231934
	buffer_load_dwordx4 a[180:183], v49, s[12:15], 0 offen     // 00000000DFEC: E05C1000 8083B431
	v_mfma_f32_16x16x32_fp8_fp8 v[200:203], a[54:55], v[142:143], v[200:203]// 00000000DFF4: D3F300C8 0F231D36
	v_mfma_f32_16x16x32_fp8_fp8 v[204:207], a[52:53], v[172:173], v[204:207]// 00000000DFFC: D3F300CC 0F335934
	v_mfma_f32_16x16x32_fp8_fp8 v[204:207], a[54:55], v[174:175], v[204:207]// 00000000E004: D3F300CC 0F335D36
	v_mfma_f32_16x16x32_fp8_fp8 v[208:211], a[56:57], v[140:141], v[208:211]// 00000000E00C: D3F300D0 0F431938
	buffer_load_dwordx4 a[184:187], v50, s[12:15], 0 offen     // 00000000E014: E05C1000 8083B832
	v_mfma_f32_16x16x32_fp8_fp8 v[208:211], a[58:59], v[142:143], v[208:211]// 00000000E01C: D3F300D0 0F431D3A
	v_mfma_f32_16x16x32_fp8_fp8 v[212:215], a[56:57], v[172:173], v[212:215]// 00000000E024: D3F300D4 0F535938
	v_mfma_f32_16x16x32_fp8_fp8 v[212:215], a[58:59], v[174:175], v[212:215]// 00000000E02C: D3F300D4 0F535D3A
	v_mfma_f32_16x16x32_fp8_fp8 v[216:219], a[60:61], v[140:141], v[216:219]// 00000000E034: D3F300D8 0F63193C
	buffer_load_dwordx4 a[188:191], v51, s[12:15], 0 offen     // 00000000E03C: E05C1000 8083BC33
	s_add_u32 s12, s78, s12                                    // 00000000E044: 800C0C4E
	s_addc_u32 s13, 0, s13                                     // 00000000E048: 820D0D80
	v_mfma_f32_16x16x32_fp8_fp8 v[216:219], a[62:63], v[142:143], v[216:219]// 00000000E04C: D3F300D8 0F631D3E
	v_mfma_f32_16x16x32_fp8_fp8 v[220:223], a[60:61], v[172:173], v[220:223]// 00000000E054: D3F300DC 0F73593C
	v_mfma_f32_16x16x32_fp8_fp8 v[220:223], a[62:63], v[174:175], v[220:223]// 00000000E05C: D3F300DC 0F735D3E
	s_waitcnt vmcnt(45)                                        // 00000000E064: BF8C8F7D
	v_mfma_f32_16x16x32_fp8_fp8 v[192:195], a[64:65], v[144:145], v[192:195]// 00000000E068: D3F300C0 0F032140
	buffer_load_dwordx4 a[192:195], v48, s[12:15], 0 offen     // 00000000E070: E05C1000 8083C030
	v_mfma_f32_16x16x32_fp8_fp8 v[192:195], a[66:67], v[146:147], v[192:195]// 00000000E078: D3F300C0 0F032542
	v_mfma_f32_16x16x32_fp8_fp8 v[196:199], a[64:65], v[176:177], v[196:199]// 00000000E080: D3F300C4 0F136140
	v_mfma_f32_16x16x32_fp8_fp8 v[196:199], a[66:67], v[178:179], v[196:199]// 00000000E088: D3F300C4 0F136542
	v_mfma_f32_16x16x32_fp8_fp8 v[200:203], a[68:69], v[144:145], v[200:203]// 00000000E090: D3F300C8 0F232144
	buffer_load_dwordx4 a[196:199], v49, s[12:15], 0 offen     // 00000000E098: E05C1000 8083C431
	v_mfma_f32_16x16x32_fp8_fp8 v[200:203], a[70:71], v[146:147], v[200:203]// 00000000E0A0: D3F300C8 0F232546
	v_mfma_f32_16x16x32_fp8_fp8 v[204:207], a[68:69], v[176:177], v[204:207]// 00000000E0A8: D3F300CC 0F336144
	v_mfma_f32_16x16x32_fp8_fp8 v[204:207], a[70:71], v[178:179], v[204:207]// 00000000E0B0: D3F300CC 0F336546
	v_mfma_f32_16x16x32_fp8_fp8 v[208:211], a[72:73], v[144:145], v[208:211]// 00000000E0B8: D3F300D0 0F432148
	buffer_load_dwordx4 a[200:203], v50, s[12:15], 0 offen     // 00000000E0C0: E05C1000 8083C832
	v_mfma_f32_16x16x32_fp8_fp8 v[208:211], a[74:75], v[146:147], v[208:211]// 00000000E0C8: D3F300D0 0F43254A
	v_mfma_f32_16x16x32_fp8_fp8 v[212:215], a[72:73], v[176:177], v[212:215]// 00000000E0D0: D3F300D4 0F536148
	v_mfma_f32_16x16x32_fp8_fp8 v[212:215], a[74:75], v[178:179], v[212:215]// 00000000E0D8: D3F300D4 0F53654A
	v_mfma_f32_16x16x32_fp8_fp8 v[216:219], a[76:77], v[144:145], v[216:219]// 00000000E0E0: D3F300D8 0F63214C
	buffer_load_dwordx4 a[204:207], v51, s[12:15], 0 offen     // 00000000E0E8: E05C1000 8083CC33
	s_add_u32 s12, s78, s12                                    // 00000000E0F0: 800C0C4E
	s_addc_u32 s13, 0, s13                                     // 00000000E0F4: 820D0D80
	v_mfma_f32_16x16x32_fp8_fp8 v[216:219], a[78:79], v[146:147], v[216:219]// 00000000E0F8: D3F300D8 0F63254E
	v_mfma_f32_16x16x32_fp8_fp8 v[220:223], a[76:77], v[176:177], v[220:223]// 00000000E100: D3F300DC 0F73614C
	v_mfma_f32_16x16x32_fp8_fp8 v[220:223], a[78:79], v[178:179], v[220:223]// 00000000E108: D3F300DC 0F73654E
	s_waitcnt vmcnt(45)                                        // 00000000E110: BF8C8F7D
	v_mfma_f32_16x16x32_fp8_fp8 v[192:195], a[80:81], v[148:149], v[192:195]// 00000000E114: D3F300C0 0F032950
	buffer_load_dwordx4 a[208:211], v48, s[12:15], 0 offen     // 00000000E11C: E05C1000 8083D030
	v_mfma_f32_16x16x32_fp8_fp8 v[192:195], a[82:83], v[150:151], v[192:195]// 00000000E124: D3F300C0 0F032D52
	v_mfma_f32_16x16x32_fp8_fp8 v[196:199], a[80:81], v[180:181], v[196:199]// 00000000E12C: D3F300C4 0F136950
	v_mfma_f32_16x16x32_fp8_fp8 v[196:199], a[82:83], v[182:183], v[196:199]// 00000000E134: D3F300C4 0F136D52
	v_mfma_f32_16x16x32_fp8_fp8 v[200:203], a[84:85], v[148:149], v[200:203]// 00000000E13C: D3F300C8 0F232954
	buffer_load_dwordx4 a[212:215], v49, s[12:15], 0 offen     // 00000000E144: E05C1000 8083D431
	v_mfma_f32_16x16x32_fp8_fp8 v[200:203], a[86:87], v[150:151], v[200:203]// 00000000E14C: D3F300C8 0F232D56
	v_mfma_f32_16x16x32_fp8_fp8 v[204:207], a[84:85], v[180:181], v[204:207]// 00000000E154: D3F300CC 0F336954
	v_mfma_f32_16x16x32_fp8_fp8 v[204:207], a[86:87], v[182:183], v[204:207]// 00000000E15C: D3F300CC 0F336D56
	v_mfma_f32_16x16x32_fp8_fp8 v[208:211], a[88:89], v[148:149], v[208:211]// 00000000E164: D3F300D0 0F432958
	buffer_load_dwordx4 a[216:219], v50, s[12:15], 0 offen     // 00000000E16C: E05C1000 8083D832
	v_mfma_f32_16x16x32_fp8_fp8 v[208:211], a[90:91], v[150:151], v[208:211]// 00000000E174: D3F300D0 0F432D5A
	v_mfma_f32_16x16x32_fp8_fp8 v[212:215], a[88:89], v[180:181], v[212:215]// 00000000E17C: D3F300D4 0F536958
	v_mfma_f32_16x16x32_fp8_fp8 v[212:215], a[90:91], v[182:183], v[212:215]// 00000000E184: D3F300D4 0F536D5A
	v_mfma_f32_16x16x32_fp8_fp8 v[216:219], a[92:93], v[148:149], v[216:219]// 00000000E18C: D3F300D8 0F63295C
	buffer_load_dwordx4 a[220:223], v51, s[12:15], 0 offen     // 00000000E194: E05C1000 8083DC33
	s_add_u32 s12, s78, s12                                    // 00000000E19C: 800C0C4E
	s_addc_u32 s13, 0, s13                                     // 00000000E1A0: 820D0D80
	v_mfma_f32_16x16x32_fp8_fp8 v[216:219], a[94:95], v[150:151], v[216:219]// 00000000E1A4: D3F300D8 0F632D5E
	v_mfma_f32_16x16x32_fp8_fp8 v[220:223], a[92:93], v[180:181], v[220:223]// 00000000E1AC: D3F300DC 0F73695C
	v_mfma_f32_16x16x32_fp8_fp8 v[220:223], a[94:95], v[182:183], v[220:223]// 00000000E1B4: D3F300DC 0F736D5E
	s_waitcnt vmcnt(45)                                        // 00000000E1BC: BF8C8F7D
	v_mfma_f32_16x16x32_fp8_fp8 v[192:195], a[96:97], v[152:153], v[192:195]// 00000000E1C0: D3F300C0 0F033160
	buffer_load_dwordx4 a[224:227], v48, s[12:15], 0 offen     // 00000000E1C8: E05C1000 8083E030
	v_mfma_f32_16x16x32_fp8_fp8 v[192:195], a[98:99], v[154:155], v[192:195]// 00000000E1D0: D3F300C0 0F033562
	v_mfma_f32_16x16x32_fp8_fp8 v[196:199], a[96:97], v[184:185], v[196:199]// 00000000E1D8: D3F300C4 0F137160
	v_mfma_f32_16x16x32_fp8_fp8 v[196:199], a[98:99], v[186:187], v[196:199]// 00000000E1E0: D3F300C4 0F137562
	v_mfma_f32_16x16x32_fp8_fp8 v[200:203], a[100:101], v[152:153], v[200:203]// 00000000E1E8: D3F300C8 0F233164
	buffer_load_dwordx4 a[228:231], v49, s[12:15], 0 offen     // 00000000E1F0: E05C1000 8083E431
	v_mfma_f32_16x16x32_fp8_fp8 v[200:203], a[102:103], v[154:155], v[200:203]// 00000000E1F8: D3F300C8 0F233566
	v_mfma_f32_16x16x32_fp8_fp8 v[204:207], a[100:101], v[184:185], v[204:207]// 00000000E200: D3F300CC 0F337164
	v_mfma_f32_16x16x32_fp8_fp8 v[204:207], a[102:103], v[186:187], v[204:207]// 00000000E208: D3F300CC 0F337566
	v_mfma_f32_16x16x32_fp8_fp8 v[208:211], a[104:105], v[152:153], v[208:211]// 00000000E210: D3F300D0 0F433168
	buffer_load_dwordx4 a[232:235], v50, s[12:15], 0 offen     // 00000000E218: E05C1000 8083E832
	v_mfma_f32_16x16x32_fp8_fp8 v[208:211], a[106:107], v[154:155], v[208:211]// 00000000E220: D3F300D0 0F43356A
	v_mfma_f32_16x16x32_fp8_fp8 v[212:215], a[104:105], v[184:185], v[212:215]// 00000000E228: D3F300D4 0F537168
	v_mfma_f32_16x16x32_fp8_fp8 v[212:215], a[106:107], v[186:187], v[212:215]// 00000000E230: D3F300D4 0F53756A
	v_mfma_f32_16x16x32_fp8_fp8 v[216:219], a[108:109], v[152:153], v[216:219]// 00000000E238: D3F300D8 0F63316C
	buffer_load_dwordx4 a[236:239], v51, s[12:15], 0 offen     // 00000000E240: E05C1000 8083EC33
	s_add_u32 s12, s78, s12                                    // 00000000E248: 800C0C4E
	s_addc_u32 s13, 0, s13                                     // 00000000E24C: 820D0D80
	v_mfma_f32_16x16x32_fp8_fp8 v[216:219], a[110:111], v[154:155], v[216:219]// 00000000E250: D3F300D8 0F63356E
	v_mfma_f32_16x16x32_fp8_fp8 v[220:223], a[108:109], v[184:185], v[220:223]// 00000000E258: D3F300DC 0F73716C
	v_mfma_f32_16x16x32_fp8_fp8 v[220:223], a[110:111], v[186:187], v[220:223]// 00000000E260: D3F300DC 0F73756E
	s_waitcnt vmcnt(44)                                        // 00000000E268: BF8C8F7C
	v_mfma_f32_16x16x32_fp8_fp8 v[192:195], a[112:113], v[156:157], v[192:195]// 00000000E26C: D3F300C0 0F033970
	buffer_load_dwordx4 a[240:243], v48, s[12:15], 0 offen     // 00000000E274: E05C1000 8083F030
	v_mfma_f32_16x16x32_fp8_fp8 v[192:195], a[114:115], v[158:159], v[192:195]// 00000000E27C: D3F300C0 0F033D72
	v_mfma_f32_16x16x32_fp8_fp8 v[196:199], a[112:113], v[188:189], v[196:199]// 00000000E284: D3F300C4 0F137970
	buffer_load_dword v13, v5, s[16:19], 0 offen               // 00000000E28C: E0501000 80040D05
	v_mfma_f32_16x16x32_fp8_fp8 v[196:199], a[114:115], v[190:191], v[196:199]// 00000000E294: D3F300C4 0F137D72
	v_mfma_f32_16x16x32_fp8_fp8 v[200:203], a[116:117], v[156:157], v[200:203]// 00000000E29C: D3F300C8 0F233974
	buffer_load_dwordx4 a[244:247], v49, s[12:15], 0 offen     // 00000000E2A4: E05C1000 8083F431
	v_mfma_f32_16x16x32_fp8_fp8 v[200:203], a[118:119], v[158:159], v[200:203]// 00000000E2AC: D3F300C8 0F233D76
	v_mfma_f32_16x16x32_fp8_fp8 v[204:207], a[116:117], v[188:189], v[204:207]// 00000000E2B4: D3F300CC 0F337974
	v_mfma_f32_16x16x32_fp8_fp8 v[204:207], a[118:119], v[190:191], v[204:207]// 00000000E2BC: D3F300CC 0F337D76
	v_mfma_f32_16x16x32_fp8_fp8 v[208:211], a[120:121], v[156:157], v[208:211]// 00000000E2C4: D3F300D0 0F433978
	buffer_load_dwordx4 a[248:251], v50, s[12:15], 0 offen     // 00000000E2CC: E05C1000 8083F832
	v_mfma_f32_16x16x32_fp8_fp8 v[208:211], a[122:123], v[158:159], v[208:211]// 00000000E2D4: D3F300D0 0F433D7A
	v_mfma_f32_16x16x32_fp8_fp8 v[212:215], a[120:121], v[188:189], v[212:215]// 00000000E2DC: D3F300D4 0F537978
	v_mfma_f32_16x16x32_fp8_fp8 v[212:215], a[122:123], v[190:191], v[212:215]// 00000000E2E4: D3F300D4 0F537D7A
	v_mfma_f32_16x16x32_fp8_fp8 v[216:219], a[124:125], v[156:157], v[216:219]// 00000000E2EC: D3F300D8 0F63397C
	buffer_load_dwordx4 a[252:255], v51, s[12:15], 0 offen     // 00000000E2F4: E05C1000 8083FC33
	v_mfma_f32_16x16x32_fp8_fp8 v[216:219], a[126:127], v[158:159], v[216:219]// 00000000E2FC: D3F300D8 0F633D7E
	v_mfma_f32_16x16x32_fp8_fp8 v[220:223], a[124:125], v[188:189], v[220:223]// 00000000E304: D3F300DC 0F73797C
	v_mfma_f32_16x16x32_fp8_fp8 v[220:223], a[126:127], v[190:191], v[220:223]// 00000000E30C: D3F300DC 0F737D7E
	s_add_u32 s60, 0x200, s80                                  // 00000000E314: 803C50FF 00000200
	s_cmp_lt_u32 s60, s81                                      // 00000000E31C: BF0A513C
	s_cselect_b32 s56, s56, 0                                  // 00000000E320: 85388038
	s_cselect_b32 s78, s78, 0                                  // 00000000E324: 854E804E
	s_cselect_b32 s79, s79, 0                                  // 00000000E328: 854F804F
	s_add_u32 s12, s56, s12                                    // 00000000E32C: 800C0C38
	s_addc_u32 s13, 0, s13                                     // 00000000E330: 820D0D80
	s_add_u32 s16, s79, s16                                    // 00000000E334: 8010104F
	s_addc_u32 s17, 0, s17                                     // 00000000E338: 82111180
	v_mov_b32_e32 v44, v24                                     // 00000000E33C: 7E580318
	v_mov_b32_e32 v46, v20                                     // 00000000E340: 7E5C0314
	v_mov_b32_e32 v45, v44                                     // 00000000E344: 7E5A032C
	v_mov_b32_e32 v47, v46                                     // 00000000E348: 7E5E032E
	v_pk_mul_f32 v[192:193], v[44:45], v[192:193]              // 00000000E34C: D3B140C0 1803812C
	v_pk_mul_f32 v[194:195], v[44:45], v[194:195]              // 00000000E354: D3B140C2 1803852C
	v_mul_f32_dpp v192, v12, v192 row_newbcast:0 row_mask:0xf bank_mask:0xf// 00000000E35C: 0B8180FA FF01500C
	v_mul_f32_dpp v193, v12, v193 row_newbcast:1 row_mask:0xf bank_mask:0xf// 00000000E364: 0B8382FA FF01510C
	v_mul_f32_dpp v194, v12, v194 row_newbcast:2 row_mask:0xf bank_mask:0xf// 00000000E36C: 0B8584FA FF01520C
	v_mul_f32_dpp v195, v12, v195 row_newbcast:3 row_mask:0xf bank_mask:0xf// 00000000E374: 0B8786FA FF01530C
	v_pk_mul_f32 v[192:193], v[46:47], v[192:193]              // 00000000E37C: D3B140C0 1803812E
	v_pk_mul_f32 v[194:195], v[46:47], v[194:195]              // 00000000E384: D3B140C2 1803852E
	v_pk_mul_f32 v[200:201], v[44:45], v[200:201]              // 00000000E38C: D3B140C8 1803912C
	v_pk_mul_f32 v[202:203], v[44:45], v[202:203]              // 00000000E394: D3B140CA 1803952C
	v_mul_f32_dpp v200, v12, v200 row_newbcast:4 row_mask:0xf bank_mask:0xf// 00000000E39C: 0B9190FA FF01540C
	v_mul_f32_dpp v201, v12, v201 row_newbcast:5 row_mask:0xf bank_mask:0xf// 00000000E3A4: 0B9392FA FF01550C
	v_mul_f32_dpp v202, v12, v202 row_newbcast:6 row_mask:0xf bank_mask:0xf// 00000000E3AC: 0B9594FA FF01560C
	v_mul_f32_dpp v203, v12, v203 row_newbcast:7 row_mask:0xf bank_mask:0xf// 00000000E3B4: 0B9796FA FF01570C
	v_pk_mul_f32 v[200:201], v[46:47], v[200:201]              // 00000000E3BC: D3B140C8 1803912E
	v_pk_mul_f32 v[202:203], v[46:47], v[202:203]              // 00000000E3C4: D3B140CA 1803952E
	v_pk_mul_f32 v[208:209], v[44:45], v[208:209]              // 00000000E3CC: D3B140D0 1803A12C
	v_pk_mul_f32 v[210:211], v[44:45], v[210:211]              // 00000000E3D4: D3B140D2 1803A52C
	v_mul_f32_dpp v208, v12, v208 row_newbcast:8 row_mask:0xf bank_mask:0xf// 00000000E3DC: 0BA1A0FA FF01580C
	v_mul_f32_dpp v209, v12, v209 row_newbcast:9 row_mask:0xf bank_mask:0xf// 00000000E3E4: 0BA3A2FA FF01590C
	v_mul_f32_dpp v210, v12, v210 row_newbcast:10 row_mask:0xf bank_mask:0xf// 00000000E3EC: 0BA5A4FA FF015A0C
	v_mul_f32_dpp v211, v12, v211 row_newbcast:11 row_mask:0xf bank_mask:0xf// 00000000E3F4: 0BA7A6FA FF015B0C
	v_pk_mul_f32 v[208:209], v[46:47], v[208:209]              // 00000000E3FC: D3B140D0 1803A12E
	v_pk_mul_f32 v[210:211], v[46:47], v[210:211]              // 00000000E404: D3B140D2 1803A52E
	v_pk_mul_f32 v[216:217], v[44:45], v[216:217]              // 00000000E40C: D3B140D8 1803B12C
	v_pk_mul_f32 v[218:219], v[44:45], v[218:219]              // 00000000E414: D3B140DA 1803B52C
	v_mul_f32_dpp v216, v12, v216 row_newbcast:12 row_mask:0xf bank_mask:0xf// 00000000E41C: 0BB1B0FA FF015C0C
	v_mul_f32_dpp v217, v12, v217 row_newbcast:13 row_mask:0xf bank_mask:0xf// 00000000E424: 0BB3B2FA FF015D0C
	v_mul_f32_dpp v218, v12, v218 row_newbcast:14 row_mask:0xf bank_mask:0xf// 00000000E42C: 0BB5B4FA FF015E0C
	v_mul_f32_dpp v219, v12, v219 row_newbcast:15 row_mask:0xf bank_mask:0xf// 00000000E434: 0BB7B6FA FF015F0C
	v_pk_mul_f32 v[216:217], v[46:47], v[216:217]              // 00000000E43C: D3B140D8 1803B12E
	v_pk_mul_f32 v[218:219], v[46:47], v[218:219]              // 00000000E444: D3B140DA 1803B52E
	v_mov_b32_e32 v44, v25                                     // 00000000E44C: 7E580319
	v_mov_b32_e32 v46, v21                                     // 00000000E450: 7E5C0315
	v_mov_b32_e32 v45, v44                                     // 00000000E454: 7E5A032C
	v_mov_b32_e32 v47, v46                                     // 00000000E458: 7E5E032E
	v_pk_mul_f32 v[196:197], v[44:45], v[196:197]              // 00000000E45C: D3B140C4 1803892C
	v_pk_mul_f32 v[198:199], v[44:45], v[198:199]              // 00000000E464: D3B140C6 18038D2C
	v_mul_f32_dpp v196, v12, v196 row_newbcast:0 row_mask:0xf bank_mask:0xf// 00000000E46C: 0B8988FA FF01500C
	v_mul_f32_dpp v197, v12, v197 row_newbcast:1 row_mask:0xf bank_mask:0xf// 00000000E474: 0B8B8AFA FF01510C
	v_mul_f32_dpp v198, v12, v198 row_newbcast:2 row_mask:0xf bank_mask:0xf// 00000000E47C: 0B8D8CFA FF01520C
	v_mul_f32_dpp v199, v12, v199 row_newbcast:3 row_mask:0xf bank_mask:0xf// 00000000E484: 0B8F8EFA FF01530C
	v_pk_mul_f32 v[196:197], v[46:47], v[196:197]              // 00000000E48C: D3B140C4 1803892E
	v_pk_mul_f32 v[198:199], v[46:47], v[198:199]              // 00000000E494: D3B140C6 18038D2E
	v_pk_mul_f32 v[204:205], v[44:45], v[204:205]              // 00000000E49C: D3B140CC 1803992C
	v_pk_mul_f32 v[206:207], v[44:45], v[206:207]              // 00000000E4A4: D3B140CE 18039D2C
	v_mul_f32_dpp v204, v12, v204 row_newbcast:4 row_mask:0xf bank_mask:0xf// 00000000E4AC: 0B9998FA FF01540C
	v_mul_f32_dpp v205, v12, v205 row_newbcast:5 row_mask:0xf bank_mask:0xf// 00000000E4B4: 0B9B9AFA FF01550C
	v_mul_f32_dpp v206, v12, v206 row_newbcast:6 row_mask:0xf bank_mask:0xf// 00000000E4BC: 0B9D9CFA FF01560C
	v_mul_f32_dpp v207, v12, v207 row_newbcast:7 row_mask:0xf bank_mask:0xf// 00000000E4C4: 0B9F9EFA FF01570C
	v_pk_mul_f32 v[204:205], v[46:47], v[204:205]              // 00000000E4CC: D3B140CC 1803992E
	v_pk_mul_f32 v[206:207], v[46:47], v[206:207]              // 00000000E4D4: D3B140CE 18039D2E
	v_pk_mul_f32 v[212:213], v[44:45], v[212:213]              // 00000000E4DC: D3B140D4 1803A92C
	v_pk_mul_f32 v[214:215], v[44:45], v[214:215]              // 00000000E4E4: D3B140D6 1803AD2C
	v_mul_f32_dpp v212, v12, v212 row_newbcast:8 row_mask:0xf bank_mask:0xf// 00000000E4EC: 0BA9A8FA FF01580C
	v_mul_f32_dpp v213, v12, v213 row_newbcast:9 row_mask:0xf bank_mask:0xf// 00000000E4F4: 0BABAAFA FF01590C
	v_mul_f32_dpp v214, v12, v214 row_newbcast:10 row_mask:0xf bank_mask:0xf// 00000000E4FC: 0BADACFA FF015A0C
	v_mul_f32_dpp v215, v12, v215 row_newbcast:11 row_mask:0xf bank_mask:0xf// 00000000E504: 0BAFAEFA FF015B0C
	v_pk_mul_f32 v[212:213], v[46:47], v[212:213]              // 00000000E50C: D3B140D4 1803A92E
	v_pk_mul_f32 v[214:215], v[46:47], v[214:215]              // 00000000E514: D3B140D6 1803AD2E
	v_pk_mul_f32 v[220:221], v[44:45], v[220:221]              // 00000000E51C: D3B140DC 1803B92C
	v_pk_mul_f32 v[222:223], v[44:45], v[222:223]              // 00000000E524: D3B140DE 1803BD2C
	v_mul_f32_dpp v220, v12, v220 row_newbcast:12 row_mask:0xf bank_mask:0xf// 00000000E52C: 0BB9B8FA FF015C0C
	v_mul_f32_dpp v221, v12, v221 row_newbcast:13 row_mask:0xf bank_mask:0xf// 00000000E534: 0BBBBAFA FF015D0C
	v_mul_f32_dpp v222, v12, v222 row_newbcast:14 row_mask:0xf bank_mask:0xf// 00000000E53C: 0BBDBCFA FF015E0C
	v_mul_f32_dpp v223, v12, v223 row_newbcast:15 row_mask:0xf bank_mask:0xf// 00000000E544: 0BBFBEFA FF015F0C
	v_pk_mul_f32 v[220:221], v[46:47], v[220:221]              // 00000000E54C: D3B140DC 1803B92E
	v_pk_mul_f32 v[222:223], v[46:47], v[222:223]              // 00000000E554: D3B140DE 1803BD2E
	v_cvt_pkrtz_f16_f32 v192, v192, v193                       // 00000000E55C: D29600C0 000383C0
	v_cvt_pkrtz_f16_f32 v193, v194, v195                       // 00000000E564: D29600C1 000387C2
	v_cvt_pkrtz_f16_f32 v194, v196, v197                       // 00000000E56C: D29600C2 00038BC4
	v_cvt_pkrtz_f16_f32 v195, v198, v199                       // 00000000E574: D29600C3 00038FC6
	v_cvt_pkrtz_f16_f32 v196, v200, v201                       // 00000000E57C: D29600C4 000393C8
	v_cvt_pkrtz_f16_f32 v197, v202, v203                       // 00000000E584: D29600C5 000397CA
	v_cvt_pkrtz_f16_f32 v198, v204, v205                       // 00000000E58C: D29600C6 00039BCC
	v_cvt_pkrtz_f16_f32 v199, v206, v207                       // 00000000E594: D29600C7 00039FCE
	v_cvt_pkrtz_f16_f32 v200, v208, v209                       // 00000000E59C: D29600C8 0003A3D0
	v_cvt_pkrtz_f16_f32 v201, v210, v211                       // 00000000E5A4: D29600C9 0003A7D2
	v_cvt_pkrtz_f16_f32 v202, v212, v213                       // 00000000E5AC: D29600CA 0003ABD4
	v_cvt_pkrtz_f16_f32 v203, v214, v215                       // 00000000E5B4: D29600CB 0003AFD6
	v_cvt_pkrtz_f16_f32 v204, v216, v217                       // 00000000E5BC: D29600CC 0003B3D8
	v_cvt_pkrtz_f16_f32 v205, v218, v219                       // 00000000E5C4: D29600CD 0003B7DA
	v_cvt_pkrtz_f16_f32 v206, v220, v221                       // 00000000E5CC: D29600CE 0003BBDC
	v_cvt_pkrtz_f16_f32 v207, v222, v223                       // 00000000E5D4: D29600CF 0003BFDE
	ds_write_b64 v3, v[192:193] offset:2048                    // 00000000E5DC: D89A0800 0000C003
	ds_write_b64 v3, v[194:195] offset:10752                   // 00000000E5E4: D89A2A00 0000C203
	ds_write_b64 v3, v[196:197] offset:4224                    // 00000000E5EC: D89A1080 0000C403
	ds_write_b64 v3, v[198:199] offset:12928                   // 00000000E5F4: D89A3280 0000C603
	ds_write_b64 v3, v[200:201] offset:6400                    // 00000000E5FC: D89A1900 0000C803
	ds_write_b64 v3, v[202:203] offset:15104                   // 00000000E604: D89A3B00 0000CA03
	ds_write_b64 v3, v[204:205] offset:8576                    // 00000000E60C: D89A2180 0000CC03
	ds_write_b64 v3, v[206:207] offset:17280                   // 00000000E614: D89A4380 0000CE03
	s_waitcnt lgkmcnt(0)                                       // 00000000E61C: BF8CC07F
	s_barrier                                                  // 00000000E620: BF8A0000
	ds_read_b32 v64, v4 offset:2048                            // 00000000E624: D86C0800 40000004
	ds_read_b32 v65, v4 offset:6400                            // 00000000E62C: D86C1900 41000004
	ds_read_b32 v66, v4 offset:2080                            // 00000000E634: D86C0820 42000004
	ds_read_b32 v67, v4 offset:6432                            // 00000000E63C: D86C1920 43000004
	ds_read_b32 v68, v4 offset:2112                            // 00000000E644: D86C0840 44000004
	ds_read_b32 v69, v4 offset:6464                            // 00000000E64C: D86C1940 45000004
	ds_read_b32 v70, v4 offset:2144                            // 00000000E654: D86C0860 46000004
	ds_read_b32 v71, v4 offset:6496                            // 00000000E65C: D86C1960 47000004
	ds_read_b32 v72, v4 offset:10752                           // 00000000E664: D86C2A00 48000004
	ds_read_b32 v73, v4 offset:15104                           // 00000000E66C: D86C3B00 49000004
	ds_read_b32 v74, v4 offset:10784                           // 00000000E674: D86C2A20 4A000004
	ds_read_b32 v75, v4 offset:15136                           // 00000000E67C: D86C3B20 4B000004
	ds_read_b32 v76, v4 offset:10816                           // 00000000E684: D86C2A40 4C000004
	ds_read_b32 v77, v4 offset:15168                           // 00000000E68C: D86C3B40 4D000004
	ds_read_b32 v78, v4 offset:10848                           // 00000000E694: D86C2A60 4E000004
	ds_read_b32 v79, v4 offset:15200                           // 00000000E69C: D86C3B60 4F000004
	s_waitcnt lgkmcnt(0)                                       // 00000000E6A4: BF8CC07F
	s_mov_b64 exec, s[20:21]                                   // 00000000E6A8: BEFE0114
	global_atomic_pk_add_f16 v80, v64, s[8:9]                  // 00000000E6AC: DD388000 00084050
	s_mov_b64 exec, s[36:37]                                   // 00000000E6B4: BEFE0124
	s_mov_b64 exec, s[20:21]                                   // 00000000E6B8: BEFE0114
	global_atomic_pk_add_f16 v80, v65, s[8:9] offset:256       // 00000000E6BC: DD388100 00084150
	s_mov_b64 exec, s[36:37]                                   // 00000000E6C4: BEFE0124
	s_mov_b64 exec, s[22:23]                                   // 00000000E6C8: BEFE0116
	global_atomic_pk_add_f16 v82, v66, s[8:9]                  // 00000000E6CC: DD388000 00084252
	s_mov_b64 exec, s[36:37]                                   // 00000000E6D4: BEFE0124
	s_mov_b64 exec, s[22:23]                                   // 00000000E6D8: BEFE0116
	global_atomic_pk_add_f16 v82, v67, s[8:9] offset:256       // 00000000E6DC: DD388100 00084352
	s_mov_b64 exec, s[36:37]                                   // 00000000E6E4: BEFE0124
	s_mov_b64 exec, s[24:25]                                   // 00000000E6E8: BEFE0118
	global_atomic_pk_add_f16 v84, v68, s[8:9]                  // 00000000E6EC: DD388000 00084454
	s_mov_b64 exec, s[36:37]                                   // 00000000E6F4: BEFE0124
	s_mov_b64 exec, s[24:25]                                   // 00000000E6F8: BEFE0118
	global_atomic_pk_add_f16 v84, v69, s[8:9] offset:256       // 00000000E6FC: DD388100 00084554
	s_mov_b64 exec, s[36:37]                                   // 00000000E704: BEFE0124
	s_mov_b64 exec, s[26:27]                                   // 00000000E708: BEFE011A
	global_atomic_pk_add_f16 v86, v70, s[8:9]                  // 00000000E70C: DD388000 00084656
	s_mov_b64 exec, s[36:37]                                   // 00000000E714: BEFE0124
	s_mov_b64 exec, s[26:27]                                   // 00000000E718: BEFE011A
	global_atomic_pk_add_f16 v86, v71, s[8:9] offset:256       // 00000000E71C: DD388100 00084756
	s_mov_b64 exec, s[36:37]                                   // 00000000E724: BEFE0124
	s_mov_b64 exec, s[28:29]                                   // 00000000E728: BEFE011C
	global_atomic_pk_add_f16 v88, v72, s[8:9]                  // 00000000E72C: DD388000 00084858
	s_mov_b64 exec, s[36:37]                                   // 00000000E734: BEFE0124
	s_mov_b64 exec, s[28:29]                                   // 00000000E738: BEFE011C
	global_atomic_pk_add_f16 v88, v73, s[8:9] offset:256       // 00000000E73C: DD388100 00084958
	s_mov_b64 exec, s[36:37]                                   // 00000000E744: BEFE0124
	s_mov_b64 exec, s[30:31]                                   // 00000000E748: BEFE011E
	global_atomic_pk_add_f16 v90, v74, s[8:9]                  // 00000000E74C: DD388000 00084A5A
	s_mov_b64 exec, s[36:37]                                   // 00000000E754: BEFE0124
	s_mov_b64 exec, s[30:31]                                   // 00000000E758: BEFE011E
	global_atomic_pk_add_f16 v90, v75, s[8:9] offset:256       // 00000000E75C: DD388100 00084B5A
	s_mov_b64 exec, s[36:37]                                   // 00000000E764: BEFE0124
	s_mov_b64 exec, s[32:33]                                   // 00000000E768: BEFE0120
	global_atomic_pk_add_f16 v92, v76, s[8:9]                  // 00000000E76C: DD388000 00084C5C
	s_mov_b64 exec, s[36:37]                                   // 00000000E774: BEFE0124
	s_mov_b64 exec, s[32:33]                                   // 00000000E778: BEFE0120
	global_atomic_pk_add_f16 v92, v77, s[8:9] offset:256       // 00000000E77C: DD388100 00084D5C
	s_mov_b64 exec, s[36:37]                                   // 00000000E784: BEFE0124
	s_mov_b64 exec, s[34:35]                                   // 00000000E788: BEFE0122
	global_atomic_pk_add_f16 v94, v78, s[8:9]                  // 00000000E78C: DD388000 00084E5E
	s_mov_b64 exec, s[36:37]                                   // 00000000E794: BEFE0124
	s_mov_b64 exec, s[34:35]                                   // 00000000E798: BEFE0122
	global_atomic_pk_add_f16 v94, v79, s[8:9] offset:256       // 00000000E79C: DD388100 00084F5E
	s_mov_b64 exec, s[36:37]                                   // 00000000E7A4: BEFE0124
	s_add_u32 s8, s59, s8                                      // 00000000E7A8: 8008083B
	s_addc_u32 s9, 0, s9                                       // 00000000E7AC: 82090980
	s_addk_i32 s80, 0x100                                      // 00000000E7B0: B7500100
	s_cmp_lt_i32 s80, s81                                      // 00000000E7B4: BF045150
	s_cbranch_scc0 label_1A80                                  // 00000000E7B8: BF84EC11
	s_waitcnt vmcnt(45)                                        // 00000000E7BC: BF8C8F7D
	s_barrier                                                  // 00000000E7C0: BF8A0000
	v_mfma_f32_16x16x32_fp8_fp8 v[224:227], a[128:129], v[128:129], 0// 00000000E7C4: D3F300E0 0A030180
	buffer_load_dwordx4 a[0:3], v48, s[12:15], 0 offen         // 00000000E7CC: E05C1000 80830030
	v_mfma_f32_16x16x32_fp8_fp8 v[224:227], a[130:131], v[130:131], v[224:227]// 00000000E7D4: D3F300E0 0F830582
	v_mfma_f32_16x16x32_fp8_fp8 v[228:231], a[128:129], v[160:161], 0// 00000000E7DC: D3F300E4 0A034180
	v_mfma_f32_16x16x32_fp8_fp8 v[228:231], a[130:131], v[162:163], v[228:231]// 00000000E7E4: D3F300E4 0F934582
	v_mfma_f32_16x16x32_fp8_fp8 v[232:235], a[132:133], v[128:129], 0// 00000000E7EC: D3F300E8 0A030184
	buffer_load_dwordx4 a[4:7], v49, s[12:15], 0 offen         // 00000000E7F4: E05C1000 80830431
	v_mfma_f32_16x16x32_fp8_fp8 v[232:235], a[134:135], v[130:131], v[232:235]// 00000000E7FC: D3F300E8 0FA30586
	v_mfma_f32_16x16x32_fp8_fp8 v[236:239], a[132:133], v[160:161], 0// 00000000E804: D3F300EC 0A034184
	v_mfma_f32_16x16x32_fp8_fp8 v[236:239], a[134:135], v[162:163], v[236:239]// 00000000E80C: D3F300EC 0FB34586
	v_mfma_f32_16x16x32_fp8_fp8 v[240:243], a[136:137], v[128:129], 0// 00000000E814: D3F300F0 0A030188
	buffer_load_dwordx4 a[8:11], v50, s[12:15], 0 offen        // 00000000E81C: E05C1000 80830832
	v_mfma_f32_16x16x32_fp8_fp8 v[240:243], a[138:139], v[130:131], v[240:243]// 00000000E824: D3F300F0 0FC3058A
	v_mfma_f32_16x16x32_fp8_fp8 v[244:247], a[136:137], v[160:161], 0// 00000000E82C: D3F300F4 0A034188
	v_mfma_f32_16x16x32_fp8_fp8 v[244:247], a[138:139], v[162:163], v[244:247]// 00000000E834: D3F300F4 0FD3458A
	v_mfma_f32_16x16x32_fp8_fp8 v[248:251], a[140:141], v[128:129], 0// 00000000E83C: D3F300F8 0A03018C
	buffer_load_dwordx4 a[12:15], v51, s[12:15], 0 offen       // 00000000E844: E05C1000 80830C33
	s_add_u32 s12, s78, s12                                    // 00000000E84C: 800C0C4E
	s_addc_u32 s13, 0, s13                                     // 00000000E850: 820D0D80
	v_mfma_f32_16x16x32_fp8_fp8 v[248:251], a[142:143], v[130:131], v[248:251]// 00000000E854: D3F300F8 0FE3058E
	v_mfma_f32_16x16x32_fp8_fp8 v[252:255], a[140:141], v[160:161], 0// 00000000E85C: D3F300FC 0A03418C
	v_mfma_f32_16x16x32_fp8_fp8 v[252:255], a[142:143], v[162:163], v[252:255]// 00000000E864: D3F300FC 0FF3458E
	s_waitcnt vmcnt(45)                                        // 00000000E86C: BF8C8F7D
	v_mfma_f32_16x16x32_fp8_fp8 v[224:227], a[144:145], v[132:133], v[224:227]// 00000000E870: D3F300E0 0F830990
	buffer_load_dwordx4 a[16:19], v48, s[12:15], 0 offen       // 00000000E878: E05C1000 80831030
	v_mfma_f32_16x16x32_fp8_fp8 v[224:227], a[146:147], v[134:135], v[224:227]// 00000000E880: D3F300E0 0F830D92
	v_mfma_f32_16x16x32_fp8_fp8 v[228:231], a[144:145], v[164:165], v[228:231]// 00000000E888: D3F300E4 0F934990
	v_mfma_f32_16x16x32_fp8_fp8 v[228:231], a[146:147], v[166:167], v[228:231]// 00000000E890: D3F300E4 0F934D92
	v_mfma_f32_16x16x32_fp8_fp8 v[232:235], a[148:149], v[132:133], v[232:235]// 00000000E898: D3F300E8 0FA30994
	buffer_load_dwordx4 a[20:23], v49, s[12:15], 0 offen       // 00000000E8A0: E05C1000 80831431
	v_mfma_f32_16x16x32_fp8_fp8 v[232:235], a[150:151], v[134:135], v[232:235]// 00000000E8A8: D3F300E8 0FA30D96
	v_mfma_f32_16x16x32_fp8_fp8 v[236:239], a[148:149], v[164:165], v[236:239]// 00000000E8B0: D3F300EC 0FB34994
	v_mfma_f32_16x16x32_fp8_fp8 v[236:239], a[150:151], v[166:167], v[236:239]// 00000000E8B8: D3F300EC 0FB34D96
	v_mfma_f32_16x16x32_fp8_fp8 v[240:243], a[152:153], v[132:133], v[240:243]// 00000000E8C0: D3F300F0 0FC30998
	buffer_load_dwordx4 a[24:27], v50, s[12:15], 0 offen       // 00000000E8C8: E05C1000 80831832
	v_mfma_f32_16x16x32_fp8_fp8 v[240:243], a[154:155], v[134:135], v[240:243]// 00000000E8D0: D3F300F0 0FC30D9A
	v_mfma_f32_16x16x32_fp8_fp8 v[244:247], a[152:153], v[164:165], v[244:247]// 00000000E8D8: D3F300F4 0FD34998
	v_mfma_f32_16x16x32_fp8_fp8 v[244:247], a[154:155], v[166:167], v[244:247]// 00000000E8E0: D3F300F4 0FD34D9A
	v_mfma_f32_16x16x32_fp8_fp8 v[248:251], a[156:157], v[132:133], v[248:251]// 00000000E8E8: D3F300F8 0FE3099C
	buffer_load_dwordx4 a[28:31], v51, s[12:15], 0 offen       // 00000000E8F0: E05C1000 80831C33
	s_add_u32 s12, s78, s12                                    // 00000000E8F8: 800C0C4E
	s_addc_u32 s13, 0, s13                                     // 00000000E8FC: 820D0D80
	v_mfma_f32_16x16x32_fp8_fp8 v[248:251], a[158:159], v[134:135], v[248:251]// 00000000E900: D3F300F8 0FE30D9E
	v_mfma_f32_16x16x32_fp8_fp8 v[252:255], a[156:157], v[164:165], v[252:255]// 00000000E908: D3F300FC 0FF3499C
	v_mfma_f32_16x16x32_fp8_fp8 v[252:255], a[158:159], v[166:167], v[252:255]// 00000000E910: D3F300FC 0FF34D9E
	s_waitcnt vmcnt(45)                                        // 00000000E918: BF8C8F7D
	v_mfma_f32_16x16x32_fp8_fp8 v[224:227], a[160:161], v[136:137], v[224:227]// 00000000E91C: D3F300E0 0F8311A0
	buffer_load_dwordx4 a[32:35], v48, s[12:15], 0 offen       // 00000000E924: E05C1000 80832030
	v_mfma_f32_16x16x32_fp8_fp8 v[224:227], a[162:163], v[138:139], v[224:227]// 00000000E92C: D3F300E0 0F8315A2
	v_mfma_f32_16x16x32_fp8_fp8 v[228:231], a[160:161], v[168:169], v[228:231]// 00000000E934: D3F300E4 0F9351A0
	v_mfma_f32_16x16x32_fp8_fp8 v[228:231], a[162:163], v[170:171], v[228:231]// 00000000E93C: D3F300E4 0F9355A2
	v_mfma_f32_16x16x32_fp8_fp8 v[232:235], a[164:165], v[136:137], v[232:235]// 00000000E944: D3F300E8 0FA311A4
	buffer_load_dwordx4 a[36:39], v49, s[12:15], 0 offen       // 00000000E94C: E05C1000 80832431
	v_mfma_f32_16x16x32_fp8_fp8 v[232:235], a[166:167], v[138:139], v[232:235]// 00000000E954: D3F300E8 0FA315A6
	v_mfma_f32_16x16x32_fp8_fp8 v[236:239], a[164:165], v[168:169], v[236:239]// 00000000E95C: D3F300EC 0FB351A4
	v_mfma_f32_16x16x32_fp8_fp8 v[236:239], a[166:167], v[170:171], v[236:239]// 00000000E964: D3F300EC 0FB355A6
	v_mfma_f32_16x16x32_fp8_fp8 v[240:243], a[168:169], v[136:137], v[240:243]// 00000000E96C: D3F300F0 0FC311A8
	buffer_load_dwordx4 a[40:43], v50, s[12:15], 0 offen       // 00000000E974: E05C1000 80832832
	v_mfma_f32_16x16x32_fp8_fp8 v[240:243], a[170:171], v[138:139], v[240:243]// 00000000E97C: D3F300F0 0FC315AA
	v_mfma_f32_16x16x32_fp8_fp8 v[244:247], a[168:169], v[168:169], v[244:247]// 00000000E984: D3F300F4 0FD351A8
	v_mfma_f32_16x16x32_fp8_fp8 v[244:247], a[170:171], v[170:171], v[244:247]// 00000000E98C: D3F300F4 0FD355AA
	v_mfma_f32_16x16x32_fp8_fp8 v[248:251], a[172:173], v[136:137], v[248:251]// 00000000E994: D3F300F8 0FE311AC
	buffer_load_dwordx4 a[44:47], v51, s[12:15], 0 offen       // 00000000E99C: E05C1000 80832C33
	s_add_u32 s12, s78, s12                                    // 00000000E9A4: 800C0C4E
	s_addc_u32 s13, 0, s13                                     // 00000000E9A8: 820D0D80
	v_mfma_f32_16x16x32_fp8_fp8 v[248:251], a[174:175], v[138:139], v[248:251]// 00000000E9AC: D3F300F8 0FE315AE
	v_mfma_f32_16x16x32_fp8_fp8 v[252:255], a[172:173], v[168:169], v[252:255]// 00000000E9B4: D3F300FC 0FF351AC
	v_mfma_f32_16x16x32_fp8_fp8 v[252:255], a[174:175], v[170:171], v[252:255]// 00000000E9BC: D3F300FC 0FF355AE
	s_waitcnt vmcnt(45)                                        // 00000000E9C4: BF8C8F7D
	v_mfma_f32_16x16x32_fp8_fp8 v[224:227], a[176:177], v[140:141], v[224:227]// 00000000E9C8: D3F300E0 0F8319B0
	buffer_load_dwordx4 a[48:51], v48, s[12:15], 0 offen       // 00000000E9D0: E05C1000 80833030
	v_mfma_f32_16x16x32_fp8_fp8 v[224:227], a[178:179], v[142:143], v[224:227]// 00000000E9D8: D3F300E0 0F831DB2
	v_mfma_f32_16x16x32_fp8_fp8 v[228:231], a[176:177], v[172:173], v[228:231]// 00000000E9E0: D3F300E4 0F9359B0
	v_mfma_f32_16x16x32_fp8_fp8 v[228:231], a[178:179], v[174:175], v[228:231]// 00000000E9E8: D3F300E4 0F935DB2
	v_mfma_f32_16x16x32_fp8_fp8 v[232:235], a[180:181], v[140:141], v[232:235]// 00000000E9F0: D3F300E8 0FA319B4
	buffer_load_dwordx4 a[52:55], v49, s[12:15], 0 offen       // 00000000E9F8: E05C1000 80833431
	v_mfma_f32_16x16x32_fp8_fp8 v[232:235], a[182:183], v[142:143], v[232:235]// 00000000EA00: D3F300E8 0FA31DB6
	v_mfma_f32_16x16x32_fp8_fp8 v[236:239], a[180:181], v[172:173], v[236:239]// 00000000EA08: D3F300EC 0FB359B4
	v_mfma_f32_16x16x32_fp8_fp8 v[236:239], a[182:183], v[174:175], v[236:239]// 00000000EA10: D3F300EC 0FB35DB6
	v_mfma_f32_16x16x32_fp8_fp8 v[240:243], a[184:185], v[140:141], v[240:243]// 00000000EA18: D3F300F0 0FC319B8
	buffer_load_dwordx4 a[56:59], v50, s[12:15], 0 offen       // 00000000EA20: E05C1000 80833832
	v_mfma_f32_16x16x32_fp8_fp8 v[240:243], a[186:187], v[142:143], v[240:243]// 00000000EA28: D3F300F0 0FC31DBA
	v_mfma_f32_16x16x32_fp8_fp8 v[244:247], a[184:185], v[172:173], v[244:247]// 00000000EA30: D3F300F4 0FD359B8
	v_mfma_f32_16x16x32_fp8_fp8 v[244:247], a[186:187], v[174:175], v[244:247]// 00000000EA38: D3F300F4 0FD35DBA
	v_mfma_f32_16x16x32_fp8_fp8 v[248:251], a[188:189], v[140:141], v[248:251]// 00000000EA40: D3F300F8 0FE319BC
	buffer_load_dwordx4 a[60:63], v51, s[12:15], 0 offen       // 00000000EA48: E05C1000 80833C33
	s_add_u32 s12, s78, s12                                    // 00000000EA50: 800C0C4E
	s_addc_u32 s13, 0, s13                                     // 00000000EA54: 820D0D80
	v_mfma_f32_16x16x32_fp8_fp8 v[248:251], a[190:191], v[142:143], v[248:251]// 00000000EA58: D3F300F8 0FE31DBE
	v_mfma_f32_16x16x32_fp8_fp8 v[252:255], a[188:189], v[172:173], v[252:255]// 00000000EA60: D3F300FC 0FF359BC
	v_mfma_f32_16x16x32_fp8_fp8 v[252:255], a[190:191], v[174:175], v[252:255]// 00000000EA68: D3F300FC 0FF35DBE
	s_waitcnt vmcnt(45)                                        // 00000000EA70: BF8C8F7D
	v_mfma_f32_16x16x32_fp8_fp8 v[224:227], a[192:193], v[144:145], v[224:227]// 00000000EA74: D3F300E0 0F8321C0
	buffer_load_dwordx4 a[64:67], v48, s[12:15], 0 offen       // 00000000EA7C: E05C1000 80834030
	v_mfma_f32_16x16x32_fp8_fp8 v[224:227], a[194:195], v[146:147], v[224:227]// 00000000EA84: D3F300E0 0F8325C2
	v_mfma_f32_16x16x32_fp8_fp8 v[228:231], a[192:193], v[176:177], v[228:231]// 00000000EA8C: D3F300E4 0F9361C0
	v_mfma_f32_16x16x32_fp8_fp8 v[228:231], a[194:195], v[178:179], v[228:231]// 00000000EA94: D3F300E4 0F9365C2
	v_mfma_f32_16x16x32_fp8_fp8 v[232:235], a[196:197], v[144:145], v[232:235]// 00000000EA9C: D3F300E8 0FA321C4
	buffer_load_dwordx4 a[68:71], v49, s[12:15], 0 offen       // 00000000EAA4: E05C1000 80834431
	v_mfma_f32_16x16x32_fp8_fp8 v[232:235], a[198:199], v[146:147], v[232:235]// 00000000EAAC: D3F300E8 0FA325C6
	v_mfma_f32_16x16x32_fp8_fp8 v[236:239], a[196:197], v[176:177], v[236:239]// 00000000EAB4: D3F300EC 0FB361C4
	v_mfma_f32_16x16x32_fp8_fp8 v[236:239], a[198:199], v[178:179], v[236:239]// 00000000EABC: D3F300EC 0FB365C6
	v_mfma_f32_16x16x32_fp8_fp8 v[240:243], a[200:201], v[144:145], v[240:243]// 00000000EAC4: D3F300F0 0FC321C8
	buffer_load_dwordx4 a[72:75], v50, s[12:15], 0 offen       // 00000000EACC: E05C1000 80834832
	v_mfma_f32_16x16x32_fp8_fp8 v[240:243], a[202:203], v[146:147], v[240:243]// 00000000EAD4: D3F300F0 0FC325CA
	v_mfma_f32_16x16x32_fp8_fp8 v[244:247], a[200:201], v[176:177], v[244:247]// 00000000EADC: D3F300F4 0FD361C8
	v_mfma_f32_16x16x32_fp8_fp8 v[244:247], a[202:203], v[178:179], v[244:247]// 00000000EAE4: D3F300F4 0FD365CA
	v_mfma_f32_16x16x32_fp8_fp8 v[248:251], a[204:205], v[144:145], v[248:251]// 00000000EAEC: D3F300F8 0FE321CC
	buffer_load_dwordx4 a[76:79], v51, s[12:15], 0 offen       // 00000000EAF4: E05C1000 80834C33
	s_add_u32 s12, s78, s12                                    // 00000000EAFC: 800C0C4E
	s_addc_u32 s13, 0, s13                                     // 00000000EB00: 820D0D80
	v_mfma_f32_16x16x32_fp8_fp8 v[248:251], a[206:207], v[146:147], v[248:251]// 00000000EB04: D3F300F8 0FE325CE
	v_mfma_f32_16x16x32_fp8_fp8 v[252:255], a[204:205], v[176:177], v[252:255]// 00000000EB0C: D3F300FC 0FF361CC
	v_mfma_f32_16x16x32_fp8_fp8 v[252:255], a[206:207], v[178:179], v[252:255]// 00000000EB14: D3F300FC 0FF365CE
	s_waitcnt vmcnt(45)                                        // 00000000EB1C: BF8C8F7D
	v_mfma_f32_16x16x32_fp8_fp8 v[224:227], a[208:209], v[148:149], v[224:227]// 00000000EB20: D3F300E0 0F8329D0
	buffer_load_dwordx4 a[80:83], v48, s[12:15], 0 offen       // 00000000EB28: E05C1000 80835030
	v_mfma_f32_16x16x32_fp8_fp8 v[224:227], a[210:211], v[150:151], v[224:227]// 00000000EB30: D3F300E0 0F832DD2
	v_mfma_f32_16x16x32_fp8_fp8 v[228:231], a[208:209], v[180:181], v[228:231]// 00000000EB38: D3F300E4 0F9369D0
	v_mfma_f32_16x16x32_fp8_fp8 v[228:231], a[210:211], v[182:183], v[228:231]// 00000000EB40: D3F300E4 0F936DD2
	v_mfma_f32_16x16x32_fp8_fp8 v[232:235], a[212:213], v[148:149], v[232:235]// 00000000EB48: D3F300E8 0FA329D4
	buffer_load_dwordx4 a[84:87], v49, s[12:15], 0 offen       // 00000000EB50: E05C1000 80835431
	v_mfma_f32_16x16x32_fp8_fp8 v[232:235], a[214:215], v[150:151], v[232:235]// 00000000EB58: D3F300E8 0FA32DD6
	v_mfma_f32_16x16x32_fp8_fp8 v[236:239], a[212:213], v[180:181], v[236:239]// 00000000EB60: D3F300EC 0FB369D4
	v_mfma_f32_16x16x32_fp8_fp8 v[236:239], a[214:215], v[182:183], v[236:239]// 00000000EB68: D3F300EC 0FB36DD6
	v_mfma_f32_16x16x32_fp8_fp8 v[240:243], a[216:217], v[148:149], v[240:243]// 00000000EB70: D3F300F0 0FC329D8
	buffer_load_dwordx4 a[88:91], v50, s[12:15], 0 offen       // 00000000EB78: E05C1000 80835832
	v_mfma_f32_16x16x32_fp8_fp8 v[240:243], a[218:219], v[150:151], v[240:243]// 00000000EB80: D3F300F0 0FC32DDA
	v_mfma_f32_16x16x32_fp8_fp8 v[244:247], a[216:217], v[180:181], v[244:247]// 00000000EB88: D3F300F4 0FD369D8
	v_mfma_f32_16x16x32_fp8_fp8 v[244:247], a[218:219], v[182:183], v[244:247]// 00000000EB90: D3F300F4 0FD36DDA
	v_mfma_f32_16x16x32_fp8_fp8 v[248:251], a[220:221], v[148:149], v[248:251]// 00000000EB98: D3F300F8 0FE329DC
	buffer_load_dwordx4 a[92:95], v51, s[12:15], 0 offen       // 00000000EBA0: E05C1000 80835C33
	s_add_u32 s12, s78, s12                                    // 00000000EBA8: 800C0C4E
	s_addc_u32 s13, 0, s13                                     // 00000000EBAC: 820D0D80
	v_mfma_f32_16x16x32_fp8_fp8 v[248:251], a[222:223], v[150:151], v[248:251]// 00000000EBB0: D3F300F8 0FE32DDE
	v_mfma_f32_16x16x32_fp8_fp8 v[252:255], a[220:221], v[180:181], v[252:255]// 00000000EBB8: D3F300FC 0FF369DC
	v_mfma_f32_16x16x32_fp8_fp8 v[252:255], a[222:223], v[182:183], v[252:255]// 00000000EBC0: D3F300FC 0FF36DDE
	s_waitcnt vmcnt(45)                                        // 00000000EBC8: BF8C8F7D
	v_mfma_f32_16x16x32_fp8_fp8 v[224:227], a[224:225], v[152:153], v[224:227]// 00000000EBCC: D3F300E0 0F8331E0
	buffer_load_dwordx4 a[96:99], v48, s[12:15], 0 offen       // 00000000EBD4: E05C1000 80836030
	v_mfma_f32_16x16x32_fp8_fp8 v[224:227], a[226:227], v[154:155], v[224:227]// 00000000EBDC: D3F300E0 0F8335E2
	v_mfma_f32_16x16x32_fp8_fp8 v[228:231], a[224:225], v[184:185], v[228:231]// 00000000EBE4: D3F300E4 0F9371E0
	v_mfma_f32_16x16x32_fp8_fp8 v[228:231], a[226:227], v[186:187], v[228:231]// 00000000EBEC: D3F300E4 0F9375E2
	v_mfma_f32_16x16x32_fp8_fp8 v[232:235], a[228:229], v[152:153], v[232:235]// 00000000EBF4: D3F300E8 0FA331E4
	buffer_load_dwordx4 a[100:103], v49, s[12:15], 0 offen     // 00000000EBFC: E05C1000 80836431
	v_mfma_f32_16x16x32_fp8_fp8 v[232:235], a[230:231], v[154:155], v[232:235]// 00000000EC04: D3F300E8 0FA335E6
	v_mfma_f32_16x16x32_fp8_fp8 v[236:239], a[228:229], v[184:185], v[236:239]// 00000000EC0C: D3F300EC 0FB371E4
	v_mfma_f32_16x16x32_fp8_fp8 v[236:239], a[230:231], v[186:187], v[236:239]// 00000000EC14: D3F300EC 0FB375E6
	v_mfma_f32_16x16x32_fp8_fp8 v[240:243], a[232:233], v[152:153], v[240:243]// 00000000EC1C: D3F300F0 0FC331E8
	buffer_load_dwordx4 a[104:107], v50, s[12:15], 0 offen     // 00000000EC24: E05C1000 80836832
	v_mfma_f32_16x16x32_fp8_fp8 v[240:243], a[234:235], v[154:155], v[240:243]// 00000000EC2C: D3F300F0 0FC335EA
	v_mfma_f32_16x16x32_fp8_fp8 v[244:247], a[232:233], v[184:185], v[244:247]// 00000000EC34: D3F300F4 0FD371E8
	v_mfma_f32_16x16x32_fp8_fp8 v[244:247], a[234:235], v[186:187], v[244:247]// 00000000EC3C: D3F300F4 0FD375EA
	v_mfma_f32_16x16x32_fp8_fp8 v[248:251], a[236:237], v[152:153], v[248:251]// 00000000EC44: D3F300F8 0FE331EC
	buffer_load_dwordx4 a[108:111], v51, s[12:15], 0 offen     // 00000000EC4C: E05C1000 80836C33
	s_add_u32 s12, s78, s12                                    // 00000000EC54: 800C0C4E
	s_addc_u32 s13, 0, s13                                     // 00000000EC58: 820D0D80
	v_mfma_f32_16x16x32_fp8_fp8 v[248:251], a[238:239], v[154:155], v[248:251]// 00000000EC5C: D3F300F8 0FE335EE
	v_mfma_f32_16x16x32_fp8_fp8 v[252:255], a[236:237], v[184:185], v[252:255]// 00000000EC64: D3F300FC 0FF371EC
	v_mfma_f32_16x16x32_fp8_fp8 v[252:255], a[238:239], v[186:187], v[252:255]// 00000000EC6C: D3F300FC 0FF375EE
	s_waitcnt vmcnt(44)                                        // 00000000EC74: BF8C8F7C
	v_mfma_f32_16x16x32_fp8_fp8 v[224:227], a[240:241], v[156:157], v[224:227]// 00000000EC78: D3F300E0 0F8339F0
	buffer_load_dwordx4 a[112:115], v48, s[12:15], 0 offen     // 00000000EC80: E05C1000 80837030
	v_mfma_f32_16x16x32_fp8_fp8 v[224:227], a[242:243], v[158:159], v[224:227]// 00000000EC88: D3F300E0 0F833DF2
	v_mfma_f32_16x16x32_fp8_fp8 v[228:231], a[240:241], v[188:189], v[228:231]// 00000000EC90: D3F300E4 0F9379F0
	buffer_load_dword v12, v5, s[16:19], 0 offen               // 00000000EC98: E0501000 80040C05
	v_mfma_f32_16x16x32_fp8_fp8 v[228:231], a[242:243], v[190:191], v[228:231]// 00000000ECA0: D3F300E4 0F937DF2
	v_mfma_f32_16x16x32_fp8_fp8 v[232:235], a[244:245], v[156:157], v[232:235]// 00000000ECA8: D3F300E8 0FA339F4
	buffer_load_dwordx4 a[116:119], v49, s[12:15], 0 offen     // 00000000ECB0: E05C1000 80837431
	v_mfma_f32_16x16x32_fp8_fp8 v[232:235], a[246:247], v[158:159], v[232:235]// 00000000ECB8: D3F300E8 0FA33DF6
	v_mfma_f32_16x16x32_fp8_fp8 v[236:239], a[244:245], v[188:189], v[236:239]// 00000000ECC0: D3F300EC 0FB379F4
	v_mfma_f32_16x16x32_fp8_fp8 v[236:239], a[246:247], v[190:191], v[236:239]// 00000000ECC8: D3F300EC 0FB37DF6
	v_mfma_f32_16x16x32_fp8_fp8 v[240:243], a[248:249], v[156:157], v[240:243]// 00000000ECD0: D3F300F0 0FC339F8
	buffer_load_dwordx4 a[120:123], v50, s[12:15], 0 offen     // 00000000ECD8: E05C1000 80837832
	v_mfma_f32_16x16x32_fp8_fp8 v[240:243], a[250:251], v[158:159], v[240:243]// 00000000ECE0: D3F300F0 0FC33DFA
	v_mfma_f32_16x16x32_fp8_fp8 v[244:247], a[248:249], v[188:189], v[244:247]// 00000000ECE8: D3F300F4 0FD379F8
	v_mfma_f32_16x16x32_fp8_fp8 v[244:247], a[250:251], v[190:191], v[244:247]// 00000000ECF0: D3F300F4 0FD37DFA
	v_mfma_f32_16x16x32_fp8_fp8 v[248:251], a[252:253], v[156:157], v[248:251]// 00000000ECF8: D3F300F8 0FE339FC
	buffer_load_dwordx4 a[124:127], v51, s[12:15], 0 offen     // 00000000ED00: E05C1000 80837C33
	v_mfma_f32_16x16x32_fp8_fp8 v[248:251], a[254:255], v[158:159], v[248:251]// 00000000ED08: D3F300F8 0FE33DFE
	v_mfma_f32_16x16x32_fp8_fp8 v[252:255], a[252:253], v[188:189], v[252:255]// 00000000ED10: D3F300FC 0FF379FC
	v_mfma_f32_16x16x32_fp8_fp8 v[252:255], a[254:255], v[190:191], v[252:255]// 00000000ED18: D3F300FC 0FF37DFE
	s_add_u32 s60, 0x200, s80                                  // 00000000ED20: 803C50FF 00000200
	s_cmp_lt_u32 s60, s81                                      // 00000000ED28: BF0A513C
	s_cselect_b32 s56, s56, 0                                  // 00000000ED2C: 85388038
	s_cselect_b32 s78, s78, 0                                  // 00000000ED30: 854E804E
	s_cselect_b32 s79, s79, 0                                  // 00000000ED34: 854F804F
	s_add_u32 s12, s56, s12                                    // 00000000ED38: 800C0C38
	s_addc_u32 s13, 0, s13                                     // 00000000ED3C: 820D0D80
	s_add_u32 s16, s79, s16                                    // 00000000ED40: 8010104F
	s_addc_u32 s17, 0, s17                                     // 00000000ED44: 82111180
	v_mov_b32_e32 v44, v24                                     // 00000000ED48: 7E580318
	v_mov_b32_e32 v46, v20                                     // 00000000ED4C: 7E5C0314
	v_mov_b32_e32 v45, v44                                     // 00000000ED50: 7E5A032C
	v_mov_b32_e32 v47, v46                                     // 00000000ED54: 7E5E032E
	v_pk_mul_f32 v[224:225], v[44:45], v[224:225]              // 00000000ED58: D3B140E0 1803C12C
	v_pk_mul_f32 v[226:227], v[44:45], v[226:227]              // 00000000ED60: D3B140E2 1803C52C
	v_mul_f32_dpp v224, v13, v224 row_newbcast:0 row_mask:0xf bank_mask:0xf// 00000000ED68: 0BC1C0FA FF01500D
	v_mul_f32_dpp v225, v13, v225 row_newbcast:1 row_mask:0xf bank_mask:0xf// 00000000ED70: 0BC3C2FA FF01510D
	v_mul_f32_dpp v226, v13, v226 row_newbcast:2 row_mask:0xf bank_mask:0xf// 00000000ED78: 0BC5C4FA FF01520D
	v_mul_f32_dpp v227, v13, v227 row_newbcast:3 row_mask:0xf bank_mask:0xf// 00000000ED80: 0BC7C6FA FF01530D
	v_pk_mul_f32 v[224:225], v[46:47], v[224:225]              // 00000000ED88: D3B140E0 1803C12E
	v_pk_mul_f32 v[226:227], v[46:47], v[226:227]              // 00000000ED90: D3B140E2 1803C52E
	v_pk_mul_f32 v[232:233], v[44:45], v[232:233]              // 00000000ED98: D3B140E8 1803D12C
	v_pk_mul_f32 v[234:235], v[44:45], v[234:235]              // 00000000EDA0: D3B140EA 1803D52C
	v_mul_f32_dpp v232, v13, v232 row_newbcast:4 row_mask:0xf bank_mask:0xf// 00000000EDA8: 0BD1D0FA FF01540D
	v_mul_f32_dpp v233, v13, v233 row_newbcast:5 row_mask:0xf bank_mask:0xf// 00000000EDB0: 0BD3D2FA FF01550D
	v_mul_f32_dpp v234, v13, v234 row_newbcast:6 row_mask:0xf bank_mask:0xf// 00000000EDB8: 0BD5D4FA FF01560D
	v_mul_f32_dpp v235, v13, v235 row_newbcast:7 row_mask:0xf bank_mask:0xf// 00000000EDC0: 0BD7D6FA FF01570D
	v_pk_mul_f32 v[232:233], v[46:47], v[232:233]              // 00000000EDC8: D3B140E8 1803D12E
	v_pk_mul_f32 v[234:235], v[46:47], v[234:235]              // 00000000EDD0: D3B140EA 1803D52E
	v_pk_mul_f32 v[240:241], v[44:45], v[240:241]              // 00000000EDD8: D3B140F0 1803E12C
	v_pk_mul_f32 v[242:243], v[44:45], v[242:243]              // 00000000EDE0: D3B140F2 1803E52C
	v_mul_f32_dpp v240, v13, v240 row_newbcast:8 row_mask:0xf bank_mask:0xf// 00000000EDE8: 0BE1E0FA FF01580D
	v_mul_f32_dpp v241, v13, v241 row_newbcast:9 row_mask:0xf bank_mask:0xf// 00000000EDF0: 0BE3E2FA FF01590D
	v_mul_f32_dpp v242, v13, v242 row_newbcast:10 row_mask:0xf bank_mask:0xf// 00000000EDF8: 0BE5E4FA FF015A0D
	v_mul_f32_dpp v243, v13, v243 row_newbcast:11 row_mask:0xf bank_mask:0xf// 00000000EE00: 0BE7E6FA FF015B0D
	v_pk_mul_f32 v[240:241], v[46:47], v[240:241]              // 00000000EE08: D3B140F0 1803E12E
	v_pk_mul_f32 v[242:243], v[46:47], v[242:243]              // 00000000EE10: D3B140F2 1803E52E
	v_pk_mul_f32 v[248:249], v[44:45], v[248:249]              // 00000000EE18: D3B140F8 1803F12C
	v_pk_mul_f32 v[250:251], v[44:45], v[250:251]              // 00000000EE20: D3B140FA 1803F52C
	v_mul_f32_dpp v248, v13, v248 row_newbcast:12 row_mask:0xf bank_mask:0xf// 00000000EE28: 0BF1F0FA FF015C0D
	v_mul_f32_dpp v249, v13, v249 row_newbcast:13 row_mask:0xf bank_mask:0xf// 00000000EE30: 0BF3F2FA FF015D0D
	v_mul_f32_dpp v250, v13, v250 row_newbcast:14 row_mask:0xf bank_mask:0xf// 00000000EE38: 0BF5F4FA FF015E0D
	v_mul_f32_dpp v251, v13, v251 row_newbcast:15 row_mask:0xf bank_mask:0xf// 00000000EE40: 0BF7F6FA FF015F0D
	v_pk_mul_f32 v[248:249], v[46:47], v[248:249]              // 00000000EE48: D3B140F8 1803F12E
	v_pk_mul_f32 v[250:251], v[46:47], v[250:251]              // 00000000EE50: D3B140FA 1803F52E
	v_mov_b32_e32 v44, v25                                     // 00000000EE58: 7E580319
	v_mov_b32_e32 v46, v21                                     // 00000000EE5C: 7E5C0315
	v_mov_b32_e32 v45, v44                                     // 00000000EE60: 7E5A032C
	v_mov_b32_e32 v47, v46                                     // 00000000EE64: 7E5E032E
	v_pk_mul_f32 v[228:229], v[44:45], v[228:229]              // 00000000EE68: D3B140E4 1803C92C
	v_pk_mul_f32 v[230:231], v[44:45], v[230:231]              // 00000000EE70: D3B140E6 1803CD2C
	v_mul_f32_dpp v228, v13, v228 row_newbcast:0 row_mask:0xf bank_mask:0xf// 00000000EE78: 0BC9C8FA FF01500D
	v_mul_f32_dpp v229, v13, v229 row_newbcast:1 row_mask:0xf bank_mask:0xf// 00000000EE80: 0BCBCAFA FF01510D
	v_mul_f32_dpp v230, v13, v230 row_newbcast:2 row_mask:0xf bank_mask:0xf// 00000000EE88: 0BCDCCFA FF01520D
	v_mul_f32_dpp v231, v13, v231 row_newbcast:3 row_mask:0xf bank_mask:0xf// 00000000EE90: 0BCFCEFA FF01530D
	v_pk_mul_f32 v[228:229], v[46:47], v[228:229]              // 00000000EE98: D3B140E4 1803C92E
	v_pk_mul_f32 v[230:231], v[46:47], v[230:231]              // 00000000EEA0: D3B140E6 1803CD2E
	v_pk_mul_f32 v[236:237], v[44:45], v[236:237]              // 00000000EEA8: D3B140EC 1803D92C
	v_pk_mul_f32 v[238:239], v[44:45], v[238:239]              // 00000000EEB0: D3B140EE 1803DD2C
	v_mul_f32_dpp v236, v13, v236 row_newbcast:4 row_mask:0xf bank_mask:0xf// 00000000EEB8: 0BD9D8FA FF01540D
	v_mul_f32_dpp v237, v13, v237 row_newbcast:5 row_mask:0xf bank_mask:0xf// 00000000EEC0: 0BDBDAFA FF01550D
	v_mul_f32_dpp v238, v13, v238 row_newbcast:6 row_mask:0xf bank_mask:0xf// 00000000EEC8: 0BDDDCFA FF01560D
	v_mul_f32_dpp v239, v13, v239 row_newbcast:7 row_mask:0xf bank_mask:0xf// 00000000EED0: 0BDFDEFA FF01570D
	v_pk_mul_f32 v[236:237], v[46:47], v[236:237]              // 00000000EED8: D3B140EC 1803D92E
	v_pk_mul_f32 v[238:239], v[46:47], v[238:239]              // 00000000EEE0: D3B140EE 1803DD2E
	v_pk_mul_f32 v[244:245], v[44:45], v[244:245]              // 00000000EEE8: D3B140F4 1803E92C
	v_pk_mul_f32 v[246:247], v[44:45], v[246:247]              // 00000000EEF0: D3B140F6 1803ED2C
	v_mul_f32_dpp v244, v13, v244 row_newbcast:8 row_mask:0xf bank_mask:0xf// 00000000EEF8: 0BE9E8FA FF01580D
	v_mul_f32_dpp v245, v13, v245 row_newbcast:9 row_mask:0xf bank_mask:0xf// 00000000EF00: 0BEBEAFA FF01590D
	v_mul_f32_dpp v246, v13, v246 row_newbcast:10 row_mask:0xf bank_mask:0xf// 00000000EF08: 0BEDECFA FF015A0D
	v_mul_f32_dpp v247, v13, v247 row_newbcast:11 row_mask:0xf bank_mask:0xf// 00000000EF10: 0BEFEEFA FF015B0D
	v_pk_mul_f32 v[244:245], v[46:47], v[244:245]              // 00000000EF18: D3B140F4 1803E92E
	v_pk_mul_f32 v[246:247], v[46:47], v[246:247]              // 00000000EF20: D3B140F6 1803ED2E
	v_pk_mul_f32 v[252:253], v[44:45], v[252:253]              // 00000000EF28: D3B140FC 1803F92C
	v_pk_mul_f32 v[254:255], v[44:45], v[254:255]              // 00000000EF30: D3B140FE 1803FD2C
	v_mul_f32_dpp v252, v13, v252 row_newbcast:12 row_mask:0xf bank_mask:0xf// 00000000EF38: 0BF9F8FA FF015C0D
	v_mul_f32_dpp v253, v13, v253 row_newbcast:13 row_mask:0xf bank_mask:0xf// 00000000EF40: 0BFBFAFA FF015D0D
	v_mul_f32_dpp v254, v13, v254 row_newbcast:14 row_mask:0xf bank_mask:0xf// 00000000EF48: 0BFDFCFA FF015E0D
	v_mul_f32_dpp v255, v13, v255 row_newbcast:15 row_mask:0xf bank_mask:0xf// 00000000EF50: 0BFFFEFA FF015F0D
	v_pk_mul_f32 v[252:253], v[46:47], v[252:253]              // 00000000EF58: D3B140FC 1803F92E
	v_pk_mul_f32 v[254:255], v[46:47], v[254:255]              // 00000000EF60: D3B140FE 1803FD2E
	v_cvt_pkrtz_f16_f32 v224, v224, v225                       // 00000000EF68: D29600E0 0003C3E0
	v_cvt_pkrtz_f16_f32 v225, v226, v227                       // 00000000EF70: D29600E1 0003C7E2
	v_cvt_pkrtz_f16_f32 v226, v228, v229                       // 00000000EF78: D29600E2 0003CBE4
	v_cvt_pkrtz_f16_f32 v227, v230, v231                       // 00000000EF80: D29600E3 0003CFE6
	v_cvt_pkrtz_f16_f32 v228, v232, v233                       // 00000000EF88: D29600E4 0003D3E8
	v_cvt_pkrtz_f16_f32 v229, v234, v235                       // 00000000EF90: D29600E5 0003D7EA
	v_cvt_pkrtz_f16_f32 v230, v236, v237                       // 00000000EF98: D29600E6 0003DBEC
	v_cvt_pkrtz_f16_f32 v231, v238, v239                       // 00000000EFA0: D29600E7 0003DFEE
	v_cvt_pkrtz_f16_f32 v232, v240, v241                       // 00000000EFA8: D29600E8 0003E3F0
	v_cvt_pkrtz_f16_f32 v233, v242, v243                       // 00000000EFB0: D29600E9 0003E7F2
	v_cvt_pkrtz_f16_f32 v234, v244, v245                       // 00000000EFB8: D29600EA 0003EBF4
	v_cvt_pkrtz_f16_f32 v235, v246, v247                       // 00000000EFC0: D29600EB 0003EFF6
	v_cvt_pkrtz_f16_f32 v236, v248, v249                       // 00000000EFC8: D29600EC 0003F3F8
	v_cvt_pkrtz_f16_f32 v237, v250, v251                       // 00000000EFD0: D29600ED 0003F7FA
	v_cvt_pkrtz_f16_f32 v238, v252, v253                       // 00000000EFD8: D29600EE 0003FBFC
	v_cvt_pkrtz_f16_f32 v239, v254, v255                       // 00000000EFE0: D29600EF 0003FFFE
	ds_write_b64 v3, v[224:225] offset:2048                    // 00000000EFE8: D89A0800 0000E003
	ds_write_b64 v3, v[226:227] offset:10752                   // 00000000EFF0: D89A2A00 0000E203
	ds_write_b64 v3, v[228:229] offset:4224                    // 00000000EFF8: D89A1080 0000E403
	ds_write_b64 v3, v[230:231] offset:12928                   // 00000000F000: D89A3280 0000E603
	ds_write_b64 v3, v[232:233] offset:6400                    // 00000000F008: D89A1900 0000E803
	ds_write_b64 v3, v[234:235] offset:15104                   // 00000000F010: D89A3B00 0000EA03
	ds_write_b64 v3, v[236:237] offset:8576                    // 00000000F018: D89A2180 0000EC03
	ds_write_b64 v3, v[238:239] offset:17280                   // 00000000F020: D89A4380 0000EE03
	s_waitcnt lgkmcnt(0)                                       // 00000000F028: BF8CC07F
	s_barrier                                                  // 00000000F02C: BF8A0000
	ds_read_b32 v64, v4 offset:2048                            // 00000000F030: D86C0800 40000004
	ds_read_b32 v65, v4 offset:6400                            // 00000000F038: D86C1900 41000004
	ds_read_b32 v66, v4 offset:2080                            // 00000000F040: D86C0820 42000004
	ds_read_b32 v67, v4 offset:6432                            // 00000000F048: D86C1920 43000004
	ds_read_b32 v68, v4 offset:2112                            // 00000000F050: D86C0840 44000004
	ds_read_b32 v69, v4 offset:6464                            // 00000000F058: D86C1940 45000004
	ds_read_b32 v70, v4 offset:2144                            // 00000000F060: D86C0860 46000004
	ds_read_b32 v71, v4 offset:6496                            // 00000000F068: D86C1960 47000004
	ds_read_b32 v72, v4 offset:10752                           // 00000000F070: D86C2A00 48000004
	ds_read_b32 v73, v4 offset:15104                           // 00000000F078: D86C3B00 49000004
	ds_read_b32 v74, v4 offset:10784                           // 00000000F080: D86C2A20 4A000004
	ds_read_b32 v75, v4 offset:15136                           // 00000000F088: D86C3B20 4B000004
	ds_read_b32 v76, v4 offset:10816                           // 00000000F090: D86C2A40 4C000004
	ds_read_b32 v77, v4 offset:15168                           // 00000000F098: D86C3B40 4D000004
	ds_read_b32 v78, v4 offset:10848                           // 00000000F0A0: D86C2A60 4E000004
	ds_read_b32 v79, v4 offset:15200                           // 00000000F0A8: D86C3B60 4F000004
	s_waitcnt lgkmcnt(0)                                       // 00000000F0B0: BF8CC07F
	s_mov_b64 exec, s[20:21]                                   // 00000000F0B4: BEFE0114
	global_atomic_pk_add_f16 v80, v64, s[8:9]                  // 00000000F0B8: DD388000 00084050
	s_mov_b64 exec, s[36:37]                                   // 00000000F0C0: BEFE0124
	s_mov_b64 exec, s[20:21]                                   // 00000000F0C4: BEFE0114
	global_atomic_pk_add_f16 v80, v65, s[8:9] offset:256       // 00000000F0C8: DD388100 00084150
	s_mov_b64 exec, s[36:37]                                   // 00000000F0D0: BEFE0124
	s_mov_b64 exec, s[22:23]                                   // 00000000F0D4: BEFE0116
	global_atomic_pk_add_f16 v82, v66, s[8:9]                  // 00000000F0D8: DD388000 00084252
	s_mov_b64 exec, s[36:37]                                   // 00000000F0E0: BEFE0124
	s_mov_b64 exec, s[22:23]                                   // 00000000F0E4: BEFE0116
	global_atomic_pk_add_f16 v82, v67, s[8:9] offset:256       // 00000000F0E8: DD388100 00084352
	s_mov_b64 exec, s[36:37]                                   // 00000000F0F0: BEFE0124
	s_mov_b64 exec, s[24:25]                                   // 00000000F0F4: BEFE0118
	global_atomic_pk_add_f16 v84, v68, s[8:9]                  // 00000000F0F8: DD388000 00084454
	s_mov_b64 exec, s[36:37]                                   // 00000000F100: BEFE0124
	s_mov_b64 exec, s[24:25]                                   // 00000000F104: BEFE0118
	global_atomic_pk_add_f16 v84, v69, s[8:9] offset:256       // 00000000F108: DD388100 00084554
	s_mov_b64 exec, s[36:37]                                   // 00000000F110: BEFE0124
	s_mov_b64 exec, s[26:27]                                   // 00000000F114: BEFE011A
	global_atomic_pk_add_f16 v86, v70, s[8:9]                  // 00000000F118: DD388000 00084656
	s_mov_b64 exec, s[36:37]                                   // 00000000F120: BEFE0124
	s_mov_b64 exec, s[26:27]                                   // 00000000F124: BEFE011A
	global_atomic_pk_add_f16 v86, v71, s[8:9] offset:256       // 00000000F128: DD388100 00084756
	s_mov_b64 exec, s[36:37]                                   // 00000000F130: BEFE0124
	s_mov_b64 exec, s[28:29]                                   // 00000000F134: BEFE011C
	global_atomic_pk_add_f16 v88, v72, s[8:9]                  // 00000000F138: DD388000 00084858
	s_mov_b64 exec, s[36:37]                                   // 00000000F140: BEFE0124
	s_mov_b64 exec, s[28:29]                                   // 00000000F144: BEFE011C
	global_atomic_pk_add_f16 v88, v73, s[8:9] offset:256       // 00000000F148: DD388100 00084958
	s_mov_b64 exec, s[36:37]                                   // 00000000F150: BEFE0124
	s_mov_b64 exec, s[30:31]                                   // 00000000F154: BEFE011E
	global_atomic_pk_add_f16 v90, v74, s[8:9]                  // 00000000F158: DD388000 00084A5A
	s_mov_b64 exec, s[36:37]                                   // 00000000F160: BEFE0124
	s_mov_b64 exec, s[30:31]                                   // 00000000F164: BEFE011E
	global_atomic_pk_add_f16 v90, v75, s[8:9] offset:256       // 00000000F168: DD388100 00084B5A
	s_mov_b64 exec, s[36:37]                                   // 00000000F170: BEFE0124
	s_mov_b64 exec, s[32:33]                                   // 00000000F174: BEFE0120
	global_atomic_pk_add_f16 v92, v76, s[8:9]                  // 00000000F178: DD388000 00084C5C
	s_mov_b64 exec, s[36:37]                                   // 00000000F180: BEFE0124
	s_mov_b64 exec, s[32:33]                                   // 00000000F184: BEFE0120
	global_atomic_pk_add_f16 v92, v77, s[8:9] offset:256       // 00000000F188: DD388100 00084D5C
	s_mov_b64 exec, s[36:37]                                   // 00000000F190: BEFE0124
	s_mov_b64 exec, s[34:35]                                   // 00000000F194: BEFE0122
	global_atomic_pk_add_f16 v94, v78, s[8:9]                  // 00000000F198: DD388000 00084E5E
	s_mov_b64 exec, s[36:37]                                   // 00000000F1A0: BEFE0124
	s_mov_b64 exec, s[34:35]                                   // 00000000F1A4: BEFE0122
	global_atomic_pk_add_f16 v94, v79, s[8:9] offset:256       // 00000000F1A8: DD388100 00084F5E
	s_mov_b64 exec, s[36:37]                                   // 00000000F1B0: BEFE0124
	s_add_u32 s8, s59, s8                                      // 00000000F1B4: 8008083B
	s_addc_u32 s9, 0, s9                                       // 00000000F1B8: 82090980
	s_addk_i32 s80, 0x100                                      // 00000000F1BC: B7500100
	s_cmp_lt_i32 s80, s81                                      // 00000000F1C0: BF045150
	s_cbranch_scc0 label_1A80                                  // 00000000F1C4: BF84E98E
	s_branch label_2BEC                                        // 00000000F1C8: BF82FAF9

000000000000f1cc <label_30F3>:
	s_waitcnt vmcnt(0) expcnt(0) lgkmcnt(0)                    // 00000000F1CC: BF8C0000
	s_endpgm                                                   // 00000000F1D0: BF810000
